;; amdgpu-corpus repo=ROCm/Tensile kind=harvested arch=n/a opt=n/a

/******************************************/
/* Function Prefix                        */
/******************************************/



/******************************************/
/* Begin Kernel                           */
/******************************************/

// Component.Signature.SignatureDefault
.amdgcn_target "amdgcn-amd-amdhsa--gfx90a"
.text
.protected Cijk_Ailk_Bjlk_HHS_BHR_MT32x128x32_MI32x32x8x1_SN_1LDSB0_APM1_ABV0_ACED0_AF0EM1_AF1EM1_AMAS0_ASE_ASGT_ASLT_ASEM1_AAC0_BL1_BS1_CLR0_DTVA0_DVO0_ETSP_EPS0_EMLL0_FL0_GLVWA4_GLVWB8_GRPM1_GRVW8_GSU11_GSUAMB_GLS0_ISA90a_IU1_K1_KLA_LBSPPA0_LBSPPB0_LPA0_LPB0_LDL1_LRVW4_LWPMn1_LDW0_FMA_MIAV0_MO40_MMFGLC_NTA0_NTB0_NTC0_NTD0_NEPBS2_NLCA1_NLCB1_ONLL1_OPLV0_PK0_PAP0_PGR2_PLR5_SIA3_SS1_SU0_SUM0_SUS0_SCIUI1_SPO1_SRVW0_SSO0_SVW1_SNLL0_TSGRA0_TSGRB0_TT1_32_TLDS0_UMLDSA0_UMLDSB0_USFGROn1_VAW1_VSn1_VW1_VWB1_VFLRP0_WSGRA0_WSGRB0_WG32_8_1_WGM8
.globl Cijk_Ailk_Bjlk_HHS_BHR_MT32x128x32_MI32x32x8x1_SN_1LDSB0_APM1_ABV0_ACED0_AF0EM1_AF1EM1_AMAS0_ASE_ASGT_ASLT_ASEM1_AAC0_BL1_BS1_CLR0_DTVA0_DVO0_ETSP_EPS0_EMLL0_FL0_GLVWA4_GLVWB8_GRPM1_GRVW8_GSU11_GSUAMB_GLS0_ISA90a_IU1_K1_KLA_LBSPPA0_LBSPPB0_LPA0_LPB0_LDL1_LRVW4_LWPMn1_LDW0_FMA_MIAV0_MO40_MMFGLC_NTA0_NTB0_NTC0_NTD0_NEPBS2_NLCA1_NLCB1_ONLL1_OPLV0_PK0_PAP0_PGR2_PLR5_SIA3_SS1_SU0_SUM0_SUS0_SCIUI1_SPO1_SRVW0_SSO0_SVW1_SNLL0_TSGRA0_TSGRB0_TT1_32_TLDS0_UMLDSA0_UMLDSB0_USFGROn1_VAW1_VSn1_VW1_VWB1_VFLRP0_WSGRA0_WSGRB0_WG32_8_1_WGM8
.p2align 8
.type Cijk_Ailk_Bjlk_HHS_BHR_MT32x128x32_MI32x32x8x1_SN_1LDSB0_APM1_ABV0_ACED0_AF0EM1_AF1EM1_AMAS0_ASE_ASGT_ASLT_ASEM1_AAC0_BL1_BS1_CLR0_DTVA0_DVO0_ETSP_EPS0_EMLL0_FL0_GLVWA4_GLVWB8_GRPM1_GRVW8_GSU11_GSUAMB_GLS0_ISA90a_IU1_K1_KLA_LBSPPA0_LBSPPB0_LPA0_LPB0_LDL1_LRVW4_LWPMn1_LDW0_FMA_MIAV0_MO40_MMFGLC_NTA0_NTB0_NTC0_NTD0_NEPBS2_NLCA1_NLCB1_ONLL1_OPLV0_PK0_PAP0_PGR2_PLR5_SIA3_SS1_SU0_SUM0_SUS0_SCIUI1_SPO1_SRVW0_SSO0_SVW1_SNLL0_TSGRA0_TSGRB0_TT1_32_TLDS0_UMLDSA0_UMLDSB0_USFGROn1_VAW1_VSn1_VW1_VWB1_VFLRP0_WSGRA0_WSGRB0_WG32_8_1_WGM8,@function
.section .rodata,#alloc
.p2align 6
.amdhsa_kernel Cijk_Ailk_Bjlk_HHS_BHR_MT32x128x32_MI32x32x8x1_SN_1LDSB0_APM1_ABV0_ACED0_AF0EM1_AF1EM1_AMAS0_ASE_ASGT_ASLT_ASEM1_AAC0_BL1_BS1_CLR0_DTVA0_DVO0_ETSP_EPS0_EMLL0_FL0_GLVWA4_GLVWB8_GRPM1_GRVW8_GSU11_GSUAMB_GLS0_ISA90a_IU1_K1_KLA_LBSPPA0_LBSPPB0_LPA0_LPB0_LDL1_LRVW4_LWPMn1_LDW0_FMA_MIAV0_MO40_MMFGLC_NTA0_NTB0_NTC0_NTD0_NEPBS2_NLCA1_NLCB1_ONLL1_OPLV0_PK0_PAP0_PGR2_PLR5_SIA3_SS1_SU0_SUM0_SUS0_SCIUI1_SPO1_SRVW0_SSO0_SVW1_SNLL0_TSGRA0_TSGRB0_TT1_32_TLDS0_UMLDSA0_UMLDSB0_USFGROn1_VAW1_VSn1_VW1_VWB1_VFLRP0_WSGRA0_WSGRB0_WG32_8_1_WGM8
  .amdhsa_user_sgpr_kernarg_segment_ptr 1
  .amdhsa_user_sgpr_kernarg_preload_offset 0
  .amdhsa_user_sgpr_kernarg_preload_length 0
  .amdhsa_user_sgpr_count 2
  .amdhsa_accum_offset 240 // accvgpr offset
  .amdhsa_next_free_vgpr 256 // vgprs
  .amdhsa_next_free_sgpr 62 // sgprs
  .amdhsa_group_segment_fixed_size 26624 // lds bytes
  .amdhsa_private_segment_fixed_size 0
  .amdhsa_system_sgpr_workgroup_id_x 1
  .amdhsa_system_sgpr_workgroup_id_y 1
  .amdhsa_system_sgpr_workgroup_id_z 1
  .amdhsa_system_vgpr_workitem_id 0
  .amdhsa_float_denorm_mode_32 3
  .amdhsa_float_denorm_mode_16_64 3
.end_amdhsa_kernel
.text

/******************************************/
/* Optimizations and Config:              */
/******************************************/
/* ThreadTile= 16 x 1 */
/* SubGroup= 2 x 128 */
/* VectorWidthA=1 */
/* VectorWidthB=1 */
/* GlobalLoadVectorWidthA=4, GlobalLoadVectorWidthB=8 */
/* DirectToLdsA=False */
/* DirectToLdsB=False */
/* UseSgprForGRO=False */
.amdgpu_metadata
---
amdhsa.version:
  - 1
  - 1
amdhsa.target: amdgcn-amd-amdhsa--gfx90a
amdhsa.kernels:
  - .name: Cijk_Ailk_Bjlk_HHS_BHR_MT32x128x32_MI32x32x8x1_SN_1LDSB0_APM1_ABV0_ACED0_AF0EM1_AF1EM1_AMAS0_ASE_ASGT_ASLT_ASEM1_AAC0_BL1_BS1_CLR0_DTVA0_DVO0_ETSP_EPS0_EMLL0_FL0_GLVWA4_GLVWB8_GRPM1_GRVW8_GSU11_GSUAMB_GLS0_ISA90a_IU1_K1_KLA_LBSPPA0_LBSPPB0_LPA0_LPB0_LDL1_LRVW4_LWPMn1_LDW0_FMA_MIAV0_MO40_MMFGLC_NTA0_NTB0_NTC0_NTD0_NEPBS2_NLCA1_NLCB1_ONLL1_OPLV0_PK0_PAP0_PGR2_PLR5_SIA3_SS1_SU0_SUM0_SUS0_SCIUI1_SPO1_SRVW0_SSO0_SVW1_SNLL0_TSGRA0_TSGRB0_TT1_32_TLDS0_UMLDSA0_UMLDSB0_USFGROn1_VAW1_VSn1_VW1_VWB1_VFLRP0_WSGRA0_WSGRB0_WG32_8_1_WGM8
    .symbol: 'Cijk_Ailk_Bjlk_HHS_BHR_MT32x128x32_MI32x32x8x1_SN_1LDSB0_APM1_ABV0_ACED0_AF0EM1_AF1EM1_AMAS0_ASE_ASGT_ASLT_ASEM1_AAC0_BL1_BS1_CLR0_DTVA0_DVO0_ETSP_EPS0_EMLL0_FL0_GLVWA4_GLVWB8_GRPM1_GRVW8_GSU11_GSUAMB_GLS0_ISA90a_IU1_K1_KLA_LBSPPA0_LBSPPB0_LPA0_LPB0_LDL1_LRVW4_LWPMn1_LDW0_FMA_MIAV0_MO40_MMFGLC_NTA0_NTB0_NTC0_NTD0_NEPBS2_NLCA1_NLCB1_ONLL1_OPLV0_PK0_PAP0_PGR2_PLR5_SIA3_SS1_SU0_SUM0_SUS0_SCIUI1_SPO1_SRVW0_SSO0_SVW1_SNLL0_TSGRA0_TSGRB0_TT1_32_TLDS0_UMLDSA0_UMLDSB0_USFGROn1_VAW1_VSn1_VW1_VWB1_VFLRP0_WSGRA0_WSGRB0_WG32_8_1_WGM8.kd'
    .language:                   OpenCL C
    .language_version:
      - 2
      - 0
    .args:
      - .name:            Tensor2dSizeA
        .size:            8
        .offset:          0
        .value_kind:      by_value
        .value_type:      u64
      - .name:            Tensor2dSizeB
        .size:            8
        .offset:          8
        .value_kind:      by_value
        .value_type:      u64
      - .name:            AddressD
        .size:            8
        .offset:          16
        .value_kind:      by_value
        .value_type:      u64
      - .name:            AddressC
        .size:            8
        .offset:          24
        .value_kind:      by_value
        .value_type:      u64
      - .name:            AddressA
        .size:            8
        .offset:          32
        .value_kind:      by_value
        .value_type:      u64
      - .name:            AddressB
        .size:            8
        .offset:          40
        .value_kind:      by_value
        .value_type:      u64
      - .name:            Alpha
        .size:            4
        .offset:          48
        .value_kind:      by_value
        .value_type:      u32
      - .name:            Beta
        .size:            4
        .offset:          52
        .value_kind:      by_value
        .value_type:      u32
      - .name:            StridesD
        .size:            8
        .offset:          56
        .value_kind:      by_value
        .value_type:      u64
      - .name:            StridesC
        .size:            8
        .offset:          64
        .value_kind:      by_value
        .value_type:      u64
      - .name:            StridesA
        .size:            8
        .offset:          72
        .value_kind:      by_value
        .value_type:      u64
      - .name:            StridesB
        .size:            8
        .offset:          80
        .value_kind:      by_value
        .value_type:      u64
      - .name:            SizesFree
        .size:            12
        .offset:          88
        .value_kind:      by_value
        .value_type:      u96
      - .name:            SizesSum
        .size:            4
        .offset:          100
        .value_kind:      by_value
        .value_type:      u32
      - .name:            NumWorkGroups0
        .size:            4
        .offset:          104
        .value_kind:      by_value
        .value_type:      u32
      - .name:            NumWorkGroups1
        .size:            4
        .offset:          108
        .value_kind:      by_value
        .value_type:      u32
      - .name:            NumFullBlocks
        .size:            4
        .offset:          112
        .value_kind:      by_value
        .value_type:      u32
      - .name:            WgmRemainder1
        .size:            4
        .offset:          116
        .value_kind:      by_value
        .value_type:      u32
      - .name:            MagicNumberWgmRemainder1
        .size:            4
        .offset:          120
        .value_kind:      by_value
        .value_type:      u32
    .group_segment_fixed_size:   26624
    .kernarg_segment_align:      8
    .kernarg_segment_size:       128
    .max_flat_workgroup_size:    256
    .private_segment_fixed_size: 0
    .sgpr_count:                 62
    .sgpr_spill_count:           0
    .vgpr_count:                 240
    .vgpr_spill_count:           0
    .wavefront_size:             64
...
.end_amdgpu_metadata
Cijk_Ailk_Bjlk_HHS_BHR_MT32x128x32_MI32x32x8x1_SN_1LDSB0_APM1_ABV0_ACED0_AF0EM1_AF1EM1_AMAS0_ASE_ASGT_ASLT_ASEM1_AAC0_BL1_BS1_CLR0_DTVA0_DVO0_ETSP_EPS0_EMLL0_FL0_GLVWA4_GLVWB8_GRPM1_GRVW8_GSU11_GSUAMB_GLS0_ISA90a_IU1_K1_KLA_LBSPPA0_LBSPPB0_LPA0_LPB0_LDL1_LRVW4_LWPMn1_LDW0_FMA_MIAV0_MO40_MMFGLC_NTA0_NTB0_NTC0_NTD0_NEPBS2_NLCA1_NLCB1_ONLL1_OPLV0_PK0_PAP0_PGR2_PLR5_SIA3_SS1_SU0_SUM0_SUS0_SCIUI1_SPO1_SRVW0_SSO0_SVW1_SNLL0_TSGRA0_TSGRB0_TT1_32_TLDS0_UMLDSA0_UMLDSB0_USFGROn1_VAW1_VSn1_VW1_VWB1_VFLRP0_WSGRA0_WSGRB0_WG32_8_1_WGM8:

/******************************************/
/* Asm syntax workarounds                 */
/******************************************/
.macro _v_add_co_u32 dst:req, cc:req, src0:req, src1:req, dpp=
   v_add_co_u32 \dst, \cc, \src0, \src1 \dpp
.endm

.macro _v_add_u32 dst:req, src0:req, src1:req, dpp=
   v_add_u32 \dst, \src0, \src1 \dpp
.endm

.macro _v_add_i32 dst:req, src0:req, src1:req, dpp=
   v_add_i32 \dst, \src0, \src1 \dpp
.endm

.macro _v_addc_co_u32 dst:req, ccOut:req, src0:req, ccIn:req, src1:req, dpp=
   v_addc_co_u32 \dst, \ccOut, \src0, \ccIn, \src1 \dpp
.endm

.macro _v_sub_co_u32 dst:req, cc:req, src0:req, src1:req, dpp=
   v_sub_co_u32 \dst, \cc, \src0, \src1 \dpp
.endm

.macro _v_sub_u32 dst:req, src0:req, src1:req, dpp=
   v_sub_u32 \dst, \src0, \src1 \dpp
.endm

.macro _v_sub_i32 dst:req, src0:req, src1:req, dpp=
   v_sub_i32 \dst, \src0, \src1 \dpp
.endm

.macro _v_add_lshl_u32 dst:req, src0:req, src1:req, shiftCnt:req
    v_add_lshl_u32 \dst, \src0, \src1, \shiftCnt
.endm

.macro _v_lshl_add_u32 dst:req, src0:req, src1:req, shiftCnt:req
    v_lshl_add_u32 \dst, \src0, \src1, \shiftCnt
.endm

.macro _v_lshl_or_b32 dst:req, src0:req, shiftCnt:req, src1:req
    v_lshl_or_b32 \dst, \src0, \shiftCnt, \src1
.endm

.macro _v_dot2acc_f32_f16 dst, src0, src1
v_dot2c_f32_f16 \dst, \src0, \src1
.endm

.macro _v_cmpx_lt_i16 dst, src0, src1=
   v_cmpx_lt_i16 \dst, \src0, \src1 
.endm

.macro _v_cmpx_lt_i32 dst, src0, src1=
   v_cmpx_lt_i32 \dst, \src0, \src1 
.endm

.macro _v_cmpx_lt_i64 dst, src0, src1=
   v_cmpx_lt_i64 \dst, \src0, \src1 
.endm

.macro _v_cmpx_lt_u16 dst, src0, src1=
   v_cmpx_lt_u16 \dst, \src0, \src1 
.endm

.macro _v_cmpx_lt_u32 dst, src0, src1=
   v_cmpx_lt_u32 \dst, \src0, \src1 
.endm

.macro _v_cmpx_lt_u64 dst, src0, src1=
   v_cmpx_lt_u64 \dst, \src0, \src1 
.endm

.macro _v_cmpx_eq_i16 dst, src0, src1=
   v_cmpx_eq_i16 \dst, \src0, \src1 
.endm

.macro _v_cmpx_eq_i32 dst, src0, src1=
   v_cmpx_eq_i32 \dst, \src0, \src1 
.endm

.macro _v_cmpx_eq_i64 dst, src0, src1=
   v_cmpx_eq_i64 \dst, \src0, \src1 
.endm

.macro _v_cmpx_eq_u16 dst, src0, src1=
   v_cmpx_eq_u16 \dst, \src0, \src1 
.endm

.macro _v_cmpx_eq_u32 dst, src0, src1=
   v_cmpx_eq_u32 \dst, \src0, \src1 
.endm

.macro _v_cmpx_eq_u64 dst, src0, src1=
   v_cmpx_eq_u64 \dst, \src0, \src1 
.endm

.macro _v_cmpx_le_i16 dst, src0, src1=
   v_cmpx_le_i16 \dst, \src0, \src1 
.endm

.macro _v_cmpx_le_i32 dst, src0, src1=
   v_cmpx_le_i32 \dst, \src0, \src1 
.endm

.macro _v_cmpx_le_i64 dst, src0, src1=
   v_cmpx_le_i64 \dst, \src0, \src1 
.endm

.macro _v_cmpx_le_u16 dst, src0, src1=
   v_cmpx_le_u16 \dst, \src0, \src1 
.endm

.macro _v_cmpx_le_u32 dst, src0, src1=
   v_cmpx_le_u32 \dst, \src0, \src1 
.endm

.macro _v_cmpx_le_u64 dst, src0, src1=
   v_cmpx_le_u64 \dst, \src0, \src1 
.endm

.macro _v_cmpx_gt_i16 dst, src0, src1=
   v_cmpx_gt_i16 \dst, \src0, \src1 
.endm

.macro _v_cmpx_gt_i32 dst, src0, src1=
   v_cmpx_gt_i32 \dst, \src0, \src1 
.endm

.macro _v_cmpx_gt_i64 dst, src0, src1=
   v_cmpx_gt_i64 \dst, \src0, \src1 
.endm

.macro _v_cmpx_gt_u16 dst, src0, src1=
   v_cmpx_gt_u16 \dst, \src0, \src1 
.endm

.macro _v_cmpx_gt_u32 dst, src0, src1=
   v_cmpx_gt_u32 \dst, \src0, \src1 
.endm

.macro _v_cmpx_gt_u64 dst, src0, src1=
   v_cmpx_gt_u64 \dst, \src0, \src1 
.endm

.macro _v_cmpx_ne_i16 dst, src0, src1=
   v_cmpx_ne_i16 \dst, \src0, \src1 
.endm

.macro _v_cmpx_ne_i32 dst, src0, src1=
   v_cmpx_ne_i32 \dst, \src0, \src1 
.endm

.macro _v_cmpx_ne_i64 dst, src0, src1=
   v_cmpx_ne_i64 \dst, \src0, \src1 
.endm

.macro _v_cmpx_ne_u16 dst, src0, src1=
   v_cmpx_ne_u16 \dst, \src0, \src1 
.endm

.macro _v_cmpx_ne_u32 dst, src0, src1=
   v_cmpx_ne_u32 \dst, \src0, \src1 
.endm

.macro _v_cmpx_ne_u64 dst, src0, src1=
   v_cmpx_ne_u64 \dst, \src0, \src1 
.endm

.macro _v_cmpx_lg_i16 dst, src0, src1=
   v_cmpx_lg_i16 \dst, \src0, \src1 
.endm

.macro _v_cmpx_lg_i32 dst, src0, src1=
   v_cmpx_lg_i32 \dst, \src0, \src1 
.endm

.macro _v_cmpx_lg_i64 dst, src0, src1=
   v_cmpx_lg_i64 \dst, \src0, \src1 
.endm

.macro _v_cmpx_lg_u16 dst, src0, src1=
   v_cmpx_lg_u16 \dst, \src0, \src1 
.endm

.macro _v_cmpx_lg_u32 dst, src0, src1=
   v_cmpx_lg_u32 \dst, \src0, \src1 
.endm

.macro _v_cmpx_lg_u64 dst, src0, src1=
   v_cmpx_lg_u64 \dst, \src0, \src1 
.endm

.macro _v_cmpx_ge_i16 dst, src0, src1=
   v_cmpx_ge_i16 \dst, \src0, \src1 
.endm

.macro _v_cmpx_ge_i32 dst, src0, src1=
   v_cmpx_ge_i32 \dst, \src0, \src1 
.endm

.macro _v_cmpx_ge_i64 dst, src0, src1=
   v_cmpx_ge_i64 \dst, \src0, \src1 
.endm

.macro _v_cmpx_ge_u16 dst, src0, src1=
   v_cmpx_ge_u16 \dst, \src0, \src1 
.endm

.macro _v_cmpx_ge_u32 dst, src0, src1=
   v_cmpx_ge_u32 \dst, \src0, \src1 
.endm

.macro _v_cmpx_ge_u64 dst, src0, src1=
   v_cmpx_ge_u64 \dst, \src0, \src1 
.endm

.macro _v_cmpx_o_i16 dst, src0, src1=
   v_cmpx_o_i16 \dst, \src0, \src1 
.endm

.macro _v_cmpx_o_i32 dst, src0, src1=
   v_cmpx_o_i32 \dst, \src0, \src1 
.endm

.macro _v_cmpx_o_i64 dst, src0, src1=
   v_cmpx_o_i64 \dst, \src0, \src1 
.endm

.macro _v_cmpx_o_u16 dst, src0, src1=
   v_cmpx_o_u16 \dst, \src0, \src1 
.endm

.macro _v_cmpx_o_u32 dst, src0, src1=
   v_cmpx_o_u32 \dst, \src0, \src1 
.endm

.macro _v_cmpx_o_u64 dst, src0, src1=
   v_cmpx_o_u64 \dst, \src0, \src1 
.endm

.macro _v_cmpx_u_i16 dst, src0, src1=
   v_cmpx_u_i16 \dst, \src0, \src1 
.endm

.macro _v_cmpx_u_i32 dst, src0, src1=
   v_cmpx_u_i32 \dst, \src0, \src1 
.endm

.macro _v_cmpx_u_i64 dst, src0, src1=
   v_cmpx_u_i64 \dst, \src0, \src1 
.endm

.macro _v_cmpx_u_u16 dst, src0, src1=
   v_cmpx_u_u16 \dst, \src0, \src1 
.endm

.macro _v_cmpx_u_u32 dst, src0, src1=
   v_cmpx_u_u32 \dst, \src0, \src1 
.endm

.macro _v_cmpx_u_u64 dst, src0, src1=
   v_cmpx_u_u64 \dst, \src0, \src1 
.endm
.macro _v_mac_f32 c:req, a:req, b:req
    v_fmac_f32 \c, \a, \b
.endmacro

/* scale global load macros */
.macro _s_load_b32 dst base offset
    s_load_dword \dst \base \offset
.endm

.macro _s_load_b64 dst base offset
    s_load_dwordx2 \dst \base \offset
.endm

.macro _s_load_b128 dst base offset
    s_load_dwordx4 \dst \base \offset
.endm

.macro _s_load_b256 dst base offset
    s_load_dwordx8 \dst \base \offset
.endm

.macro _s_load_b512 dst base offset
    s_load_dwordx16 \dst \base \offset
.endm


/* ds operation macros */
.macro _ds_load_u8 dst src offset
    ds_read_u8 \dst \src \offset
.endm

.macro _ds_load_u8_d16_hi dst src offset
    ds_read_u8_d16_hi \dst \src \offset
.endm

.macro _ds_load_u16 dst src offset
    ds_read_u16 \dst \src \offset
.endm

.macro _ds_load_u16_d16_hi dst src offset
    ds_read_u16_d16_hi \dst \src \offset
.endm

.macro _ds_load_b32 dst src offset
    ds_read_b32 \dst \src \offset
.endm

.macro _ds_load_b64 dst src offset
    ds_read_b64 \dst \src \offset
.endm

.macro _ds_load_b128 dst src offset
    ds_read_b128 \dst \src \offset
.endm

.macro _ds_store_b8 dst src offset
    ds_write_b8 \dst \src \offset
.endm

.macro _ds_store_b8_d16_hi dst src offset
    ds_write_b8_d16_hi \dst \src \offset
.endm

.macro _ds_store_b16 dst src offset
    ds_write_b16 \dst \src \offset
.endm

.macro _ds_store_b16_d16_hi dst src offset
    ds_write_b16_d16_hi \dst \src \offset
.endm

.macro _ds_store_b32 dst src offset
    ds_write_b32 \dst \src \offset
.endm

.macro _ds_store_b64 dst src offset
    ds_write_b64 \dst \src \offset
.endm

.macro _ds_store_b128 dst src offset
    ds_write_b128 \dst \src \offset
.endm

.macro _ds_load2_b32 dst src offset1 offset2
    ds_read2_b32 \dst \src \offset1 \offset2
.endm

.macro _ds_load2_b64 dst src offset1 offset2
    ds_read2_b64 \dst \src \offset1 \offset2
.endm

.macro _ds_store2_b32 dst src offset1 offset2
    ds_write2_b32 \dst \src \offset1 \offset2
.endm

.macro _ds_store2_b64 dst src offset1 offset2
    ds_write2_b64 \dst \src \offset1 \offset2
.endm


/* buffer memory operation macros */
.macro _buffer_load_b32 dst voffset base soffset offen ioffset md0 md1 md2
    buffer_load_dword \dst \voffset \base \soffset \offen \ioffset \md0 \md1 \md2
.endm

.macro _buffer_load_b64 dst voffset base soffset offen ioffset md0 md1 md2
    buffer_load_dwordx2 \dst \voffset \base \soffset \offen \ioffset \md0 \md1 \md2
.endm

.macro _buffer_load_b96 dst voffset base soffset offen ioffset md0 md1 md2
    buffer_load_dwordx3 \dst \voffset \base \soffset \offen \ioffset \md0 \md1 \md2
.endm

.macro _buffer_load_b128 dst voffset base soffset offen ioffset md0 md1 md2
    buffer_load_dwordx4 \dst \voffset \base \soffset \offen \ioffset \md0 \md1 \md2
.endm

.macro _buffer_load_d16_b16 dst voffset base soffset offen ioffset md0 md1 md2
    buffer_load_short_d16 \dst \voffset \base \soffset \offen \ioffset \md0 \md1 \md2
.endm

.macro _buffer_load_d16_hi_b16 dst voffset base soffset offen ioffset md0 md1 md2
    buffer_load_short_d16_hi \dst \voffset \base \soffset \offen \ioffset \md0 \md1 \md2
.endm

.macro _buffer_load_d16_u8 dst voffset base soffset offen ioffset md0 md1 md2
    buffer_load_ubyte_d16 \dst \voffset \base \soffset \offen \ioffset \md0 \md1 \md2
.endm

.macro _buffer_load_d16_hi_u8 dst voffset base soffset offen ioffset md0 md1 md2
    buffer_load_ubyte_d16_hi \dst \voffset \base \soffset \offen \ioffset \md0 \md1 \md2
.endm

.macro _buffer_load_u16 dst voffset base soffset offen ioffset md0 md1 md2
    buffer_load_ushort \dst \voffset \base \soffset \offen \ioffset \md0 \md1 \md2
.endm

.macro _buffer_load_b32_dtl voffset base soffset offen ioffset md0 md1 md2
    buffer_load_dword \voffset \base \soffset \offen \ioffset \md0 \md1 \md2
.endm

.macro _buffer_load_b64_dtl voffset base soffset offen ioffset md0 md1 md2
    buffer_load_dwordx2 \voffset \base \soffset \offen \ioffset \md0 \md1 \md2
.endm

.macro _buffer_load_b128_dtl voffset base soffset offen ioffset md0 md1 md2
    buffer_load_dwordx4 \voffset \base \soffset \offen \ioffset \md0 \md1 \md2
.endm

.macro _buffer_load_u16_dtl voffset base soffset offen ioffset md0 md1 md2
    buffer_load_ushort \voffset \base \soffset \offen \ioffset \md0 \md1 \md2
.endm

.macro _buffer_store_b32 src voffset base soffset offen ioffset md0 md1 md2
    buffer_store_dword \src \voffset \base \soffset \offen \ioffset \md0 \md1 \md2
.endm

.macro _buffer_store_b64 src voffset base soffset offen ioffset md0 md1 md2
    buffer_store_dwordx2 \src \voffset \base \soffset \offen \ioffset \md0 \md1 \md2
.endm

.macro _buffer_store_b96 src voffset base soffset offen ioffset md0 md1 md2
    buffer_store_dwordx3 \src \voffset \base \soffset \offen \ioffset \md0 \md1 \md2
.endm

.macro _buffer_store_b128 src voffset base soffset offen ioffset md0 md1 md2
    buffer_store_dwordx4 \src \voffset \base \soffset \offen \ioffset \md0 \md1 \md2
.endm

.macro _buffer_store_b16 src voffset base soffset offen ioffset md0 md1 md2
    buffer_store_short \src \voffset \base \soffset \offen \ioffset \md0 \md1 \md2
.endm

.macro _buffer_store_d16_hi_b16 src voffset base soffset offen ioffset md0 md1 md2
    buffer_store_short_d16_hi \src \voffset \base \soffset \offen \ioffset \md0 \md1 \md2
.endm

.macro _buffer_store_b8 src voffset base soffset offen ioffset md0 md1 md2
    buffer_store_byte \src \voffset \base \soffset \offen \ioffset \md0 \md1 \md2
.endm

.macro _buffer_store_d16_hi_b8 src voffset base soffset offen ioffset md0 md1 md2
    buffer_store_byte_d16_hi \src \voffset \base \soffset \offen \ioffset \md0 \md1 \md2
.endm

.macro _buffer_atomic_cmpswap_b32 dst voffset base soffset offen ioffset md0 md1 md2
    buffer_atomic_cmpswap \dst \voffset \base \soffset \offen \ioffset \md0 \md1 \md2
.endm

.macro _buffer_atomic_cmpswap_b64 dst voffset base soffset offen ioffset md0 md1 md2
    buffer_atomic_cmpswap_x2 \dst \voffset \base \soffset \offen \ioffset \md0 \md1 \md2
.endm


/* buffer memory operation macros */
.macro _global_load_b32 dst base src ioffset md0 md1 md2
    global_load_dword \dst \base \src \ioffset \md0 \md1 \md2
.endm

.macro _global_load_b64 dst base src ioffset md0 md1 md2
    global_load_dwordx2 \dst \base \src \ioffset \md0 \md1 \md2
.endm

.macro _global_load_b96 dst base src ioffset md0 md1 md2
    global_load_dwordx3 \dst \base \src \ioffset \md0 \md1 \md2
.endm

.macro _global_load_b128 dst base src ioffset md0 md1 md2
    global_load_dwordx4 \dst \base \src \ioffset \md0 \md1 \md2
.endm

.macro _global_load_d16_b16 dst base src ioffset md0 md1 md2
    global_load_short_d16 \dst \base \src \ioffset \md0 \md1 \md2
.endm

.macro _global_load_d16_hi_b16 dst base src ioffset md0 md1 md2
    global_load_short_d16_hi \dst \base \src \ioffset \md0 \md1 \md2
.endm

.macro _global_load_d16_u8 dst base src ioffset md0 md1 md2
    global_load_ubyte_d16 \dst \base \src \ioffset \md0 \md1 \md2
.endm

.macro _global_load_d16_hi_u8 dst base src ioffset md0 md1 md2
    global_load_ubyte_d16_hi \dst \base \src \ioffset \md0 \md1 \md2
.endm

.macro _global_load_u16 dst base src ioffset md0 md1 md2
    global_load_ushort \dst \base \src \ioffset \md0 \md1 \md2
.endm

.macro _global_store_b32 base src src2 md0 md1 md2
    global_store_dword \base \src \src2 \md0 \md1 \md2
.endm

.macro _global_store_b64 base src src2 md0 md1 md2
    global_store_dwordx2 \base \src \src2 \md0 \md1 \md2
.endm

.macro _global_store_b96 base src src2 md0 md1 md2
    global_store_dwordx3 \base \src \src2 \md0 \md1 \md2
.endm

.macro _global_store_b128 base src src2 md0 md1 md2
    global_store_dwordx4 \base \src \src2 \md0 \md1 \md2
.endm

.macro _global_store_d16_b16 base src src2 md0 md1 md2
    global_store_short \base \src \src2 \md0 \md1 \md2
.endm

.macro _global_store_d16_hi_b16 base src src2 md0 md1 md2
    global_store_short_d16_hi \base \src \src2 \md0 \md1 \md2
.endm

.macro _global_store_d16_u8 base src src2 md0 md1 md2
    global_store_ubyte_d16 \base \src \src2 \md0 \md1 \md2
.endm

.macro _global_store_d16_hi_u8 base src src2 md0 md1 md2
    global_store_ubyte_d16_hi \base \src \src2 \md0 \md1 \md2
.endm

.macro _global_store_u16 base src src2 md0 md1 md2
    global_store_ushort \base \src \src2 \md0 \md1 \md2
.endm

.macro _global_atomic_cmpswap_b32 tmp base data src ioffset md
    global_atomic_cmpswap \tmp \base \data \src \ioffset \md
.endm

.macro _global_atomic_cmpswap_b64 tmp base data src ioffset md
    global_atomic_cmpswap_x2 \tmp \base \data \src \ioffset \md
.endm


/******************************************/
/* Magic div and mod functions            */
/******************************************/
.macro V_MAGIC_DIV dstIdx:req, dividend:req, magicNumber:req, magicShift:req, magicA:req
    v_mul_hi_u32 v[\dstIdx+1], \dividend, \magicNumber
    v_mul_lo_u32 v[\dstIdx+0], \dividend, \magicA
    _v_add_u32 v[\dstIdx+0], v[\dstIdx+0], v[\dstIdx+1]
    v_lshrrev_b32 v[\dstIdx+0], \magicShift, v[\dstIdx+0]
.endm

/******************************************/
/* VGPR Assignments                       */
/******************************************/
/* ValuC range: [0-0), serializedStore enabled */
.set vgprValuC, 0
/* ValuA/B   Xn=PLR buffer idx,  In=InnerUnroll idx */
.set vgprValuA_X0_I0, 0
.set vgprValuA_X1_I0, 2
.set vgprValuA_X2_I0, 4
.set vgprValuA_X3_I0, 6
.set vgprG2LA, 22
.set vgprValuB_X0_I0, 8
.set vgprValuB_X1_I0, 10
.set vgprValuB_X2_I0, 12
.set vgprValuB_X3_I0, 14
.set vgprG2LB, 24
.set vgprLocalWriteAddrA, 16
.set vgprLocalWriteAddrB, 17
.set vgprGlobalReadOffsetA, 18
.set vgprGlobalReadOffsetB, 19
.set vgprLocalReadAddrA, 32
.set vgprLocalReadAddrB, 33
.set vgprG2Lpipe0, 34
.set vgprG2Lpipe1, 35
.set vgprSerial, 36
/* Num VGPR=240 */
/* Num AccVGPR=16 */

/******************************************/
/* SGPR Assignments                       */
/******************************************/
.set sgprKernArgAddress, 0 // (2)
.set sgprWorkGroup0, 2 // (1)
.set sgprWorkGroup1, 3 // (1)
.set sgprWorkGroup2, 4 // (1)
.set sgprGSUSumIdx, 5 // (2)
.set sgprLoopCounterL, 7 // (1)
.set sgprOrigLoopCounter, 8 // (1)
.set sgprSrdA, 12 // (4)
.set sgprSrdB, 16 // (4)
.set sgprSrdD, 20 // (4)
.set sgprSrdC, 24 // (4)
.set sgprTensor2dSizeA, 28 // (2)
.set sgprTensor2dSizeB, 30 // (2)
.set sgprAddressD, 32 // (2)
.set sgprAddressC, 34 // (2)
.set sgprAddressA, 36 // (2)
.set sgprAddressB, 38 // (2)
.set sgprAlpha, 40 // (1)
.set sgprBeta, 41 // (1)
.set sgprStridesD, 42 // (2)
.set sgprStridesC, 44 // (2)
.set sgprStridesA, 46 // (2)
.set sgprStridesB, 48 // (2)
.set sgprSizesFree, 50 // (3)
.set sgprSizesSum, 53 // (1)
.set sgprNumWorkGroups0, 54 // (1)
.set sgprNumWorkGroups1, 55 // (1)
.set sgprNumFullBlocks, 56 // (1)
.set sgprWgmRemainder1, 57 // (1)
.set sgprMagicNumberWgmRemainder1, 58 // (1)
.set sgprShadowLimitA, 0 // (2)
.set sgprShadowLimitB, 32 // (2)
.set sgprGlobalReadIncsA, 9 // (1)
.set sgprGlobalReadIncsB, 34 // (1)
/* max SGPR=62 */

/* Size Assignments */
.set sgprSizeI, sgprSizesFree+0
.set sgprSizeJ, sgprSizesFree+1
.set sgprSizeK, sgprSizesFree+2
.set sgprSizeL, sgprSizesSum+0

/* Stride Assignments */
.set constStrideD0I, 1
.set sgprStrideD1J, sgprStridesD+0
.set sgprStrideDK, sgprStridesD+1
.set constStrideC0I, 1
.set sgprStrideC1J, sgprStridesC+0
.set sgprStrideCK, sgprStridesC+1
.set constStrideA0I, 1
.set sgprStrideAL, sgprStridesA+0
.set sgprStrideAK, sgprStridesA+1
.set constStrideB1J, 1
.set sgprStrideBL, sgprStridesB+0
.set sgprStrideBK, sgprStridesB+1

.set MT0, 32
.set MT1, 128
.set DepthU, 32
.set GSU, 11
.set BpeA, 2
.set BpeALog2, 1
.set BpeB, 2
.set BpeBLog2, 1
/* Number of elements to shift-left SRD */
.set SrdShiftLeftA, 4
.set SrdShiftLeftB, 8
/* 2GB limit - set offsets to -1 to exceed this and clamp */
.set BufferLimitA, 0xffffffff
.set BufferLimitB, 0xffffffff
.set BufferOOB, 0xfffff000

/******************************************/
/* Bits 127:96 of SRD.                    */
/* hex: 0x00020000                        */
/* dst_sel_x (3b): 0                      */
/* dst_sel_y (3b): 0                      */
/* dst_sel_z (3b): 0                      */
/* dst_sel_w (3b): 0                      */
/* num_format (3b): 0                     */
/* data_format (4b): 4                    */
/* user_vm_enable (1b): 0                 */
/* user_vm_mode (1b): 0                   */
/* index_stride (2b): 0                   */
/* add_tid_enable (1b): 0                 */
/* _unusedA (3b): 0                       */
/* nv (1b): 0                             */
/* _unusedB (2b): 0                       */
/* type (2b): 0                           */
/******************************************/
.set Srd127_96, 0x00020000

/* Global Offset A */
.macro GLOBAL_OFFSET_A vgprAddr:req vgprOffset0I:req vgprOffsetL:req vgprTmp:req
v_mul_lo_u32 v[\vgprTmp+0], s[sgprStrideAL], v[\vgprOffsetL] // mul d1 lower
_v_add_co_u32 v[\vgprAddr+0], vcc, v[\vgprOffset0I], v[\vgprTmp+0] // accumulate K lower
_v_add_u32 v[\vgprAddr+0], 0x4, v[\vgprAddr+0]     // add prepad for pointer shift
v_lshlrev_b32 v[\vgprAddr+0], 0x1, v[\vgprAddr+0]  // offset *= bytes/element
.endm

/* Global Offset B */
.macro GLOBAL_OFFSET_B vgprAddr:req vgprOffset1J:req vgprOffsetL:req vgprTmp:req
v_mul_lo_u32 v[\vgprTmp+0], s[sgprStrideBL], v[\vgprOffsetL] // mul d1 lower
_v_add_co_u32 v[\vgprAddr+0], vcc, v[\vgprOffset1J], v[\vgprTmp+0] // accumulate K lower
_v_add_u32 v[\vgprAddr+0], 0x8, v[\vgprAddr+0]     // add prepad for pointer shift
v_lshlrev_b32 v[\vgprAddr+0], 0x1, v[\vgprAddr+0]  // offset *= bytes/element
.endm

/******************************************/
/* Dynamic Scalar Divide: vQuotient=vDividend/vDivisor; vRemainder=vDividend%vDivisor; */
/******************************************/
.macro DYNAMIC_VECTOR_DIVIDE vQuotient vRemainder vDividend vDivisor vTmp0 vTmp1 sTmp
v_cvt_f32_u32 v[\vQuotient], v[\vDivisor]          // 
v_rcp_f32 v[\vQuotient], v[\vQuotient]             // 
v_mul_f32 v[\vQuotient], 0x4f800000, v[\vQuotient] // 
v_cvt_u32_f32 v[\vQuotient], v[\vQuotient]         // 
v_mul_lo_u32 v[\vRemainder], v[\vDivisor], v[\vQuotient] // 
v_mul_hi_u32 v[\vTmp0], v[\vDivisor], v[\vQuotient] // 
_v_sub_co_u32 v[\vTmp1], vcc, 0x0, v[\vRemainder]  // 
v_cmp_ne_i32 s[\sTmp:\sTmp+1], 0x0, v[\vTmp0]      // 
v_cndmask_b32 v[\vRemainder], v[\vTmp1], v[\vRemainder], s[\sTmp:\sTmp+1] // 
v_mul_hi_u32 v[\vRemainder], v[\vRemainder], v[\vQuotient] // 
_v_sub_co_u32 v[\vTmp0], vcc, v[\vQuotient], v[\vRemainder] // 
_v_add_co_u32 v[\vQuotient], vcc, v[\vQuotient], v[\vRemainder] // 
v_cndmask_b32 v[\vQuotient], v[\vQuotient], v[\vTmp0], s[\sTmp:\sTmp+1] // 
v_mul_hi_u32 v[\vQuotient], v[\vQuotient], v[\vDividend] // 
v_mul_lo_u32 v[\vRemainder], v[\vQuotient], v[\vDivisor] // 
_v_sub_co_u32 v[\vTmp0], vcc, v[\vDividend], v[\vRemainder] // 
v_cmp_ge_u32 s[\sTmp:\sTmp+1], v[\vDividend], v[\vRemainder] // 
_v_add_co_u32 v[\vRemainder], vcc, 0x1, v[\vQuotient] // 
_v_add_co_u32 v[\vTmp1], vcc, -1, v[\vQuotient]    // 
v_cmp_le_u32 vcc, v[\vDivisor], v[\vTmp0]          // 
s_and_b64 vcc, s[\sTmp:\sTmp+1], vcc               // 
v_cndmask_b32 v[\vQuotient], v[\vQuotient], v[\vRemainder], vcc // 
v_cndmask_b32 v[\vQuotient], v[\vTmp1], v[\vQuotient], s[\sTmp:\sTmp+1] // 
v_cmp_ne_i32 vcc, 0x0, v[\vDivisor]                // 
v_cndmask_b32 v[\vQuotient], -1, v[\vQuotient], vcc // final result
v_mul_lo_u32 v[\vRemainder], v[\vQuotient], v[\vDivisor] // 
_v_sub_co_u32 v[\vRemainder], vcc, v[\vDividend], v[\vRemainder] // final result
.endm


	;; [unrolled: 1-line block ×3, first 2 shown]
/******************************************/
/* Allocate Resources                     */
/******************************************/

Cijk_Ailk_Bjlk_HHS_BHR_MT32x128x32_MI32x32x8x1_SN_1LDSB0_APM1_ABV0_ACED0_AF0EM1_AF1EM1_AMAS0_ASE_ASGT_ASLT_ASEM1_AAC0_BL1_BS1_CLR0_DTVA0_DVO0_ETSP_EPS0_EMLL0_FL0_GLVWA4_GLVWB8_GRPM1_GRVW8_GSU11_GSUAMB_GLS0_ISA90a_IU1_K1_KLA_LBSPPA0_LBSPPB0_LPA0_LPB0_LDL1_LRVW4_LWPMn1_LDW0_FMA_MIAV0_MO40_MMFGLC_NTA0_NTB0_NTC0_NTD0_NEPBS2_NLCA1_NLCB1_ONLL1_OPLV0_PK0_PAP0_PGR2_PLR5_SIA3_SS1_SU0_SUM0_SUS0_SCIUI1_SPO1_SRVW0_SSO0_SVW1_SNLL0_TSGRA0_TSGRB0_TT1_32_TLDS0_UMLDSA0_UMLDSB0_USFGROn1_VAW1_VSn1_VW1_VWB1_VFLRP0_WSGRA0_WSGRB0_WG32_8_1_WGM8_preloaded: // Kernel start when preloading
s_setprio 3                                        // optimization store

/* Load Kernel Args */
_s_load_b512 s[28:43], s[sgprKernArgAddress:sgprKernArgAddress+1], 0x0 // 
_s_load_b256 s[44:51], s[sgprKernArgAddress:sgprKernArgAddress+1], 0x40 // 
_s_load_b128 s[52:55], s[sgprKernArgAddress:sgprKernArgAddress+1], 0x60 // 
_s_load_b64 s[56:57], s[sgprKernArgAddress:sgprKernArgAddress+1], 0x70 // 
_s_load_b32 s58, s[sgprKernArgAddress:sgprKernArgAddress+1], 0x78 // 
s_mov_b32 m0, 0x6800                               // LDS clamp at 26624 bytes
v_mov_b32 v[vgprSerial], v0                        // thread serial id

/******************************************/
/* Local Read Addresses                   */
/******************************************/


/* local read addresses: tile assignments a/b */

/*lr0I*/
v_and_b32 v1, 63, v[vgprSerial]                    // 0. thread id in wave: wtid = tid % wavelength(64)
v_and_b32 v0, 31, v1                               // 1. N offset: nIdx = wtid % MI_N(32)
                                                   // 1. N offset: nOffset = nIdx * nStride(1) (multiplier is 1, do nothing)
                                                   // 2. block offset: bnIdx = bnIdx % num1DBlocks(1) is 0. do nothing
                                                   // 4. apply VectorWidth: bnOffset = bnOffset * vw(1) (multiplier is 1, do nothing)
v_lshrrev_b32 v1, 5, v1                            // 5. K offset: kIdx = wtid / (MIN(32) * MIBB(1))
v_lshlrev_b32 v1, 0x7, v1                          // 5. K offset: lrKOffset = kIdx * mStride(128)
_v_add_u32 v0, v1, v0                              // 6. offset in wave: lrOffset = bnOffset + lrKOffset
/*lr1J*/
v_and_b32 v2, 63, v[vgprSerial]                    // 0. thread id in wave: wtid = tid % wavelength(64)
v_and_b32 v1, 31, v2                               // 1. N offset: nIdx = wtid % MI_N(32)
                                                   // 1. N offset: nOffset = nIdx * nStride(1) (multiplier is 1, do nothing)
                                                   // 2. block offset: bnIdx = bnIdx % num1DBlocks(1) is 0. do nothing
                                                   // 4. apply VectorWidth: bnOffset = bnOffset * vw(1) (multiplier is 1, do nothing)
v_lshrrev_b32 v2, 5, v2                            // 5. K offset: kIdx = wtid / (MIN(32) * MIBB(1))
v_lshlrev_b32 v2, 0x9, v2                          // 5. K offset: lrKOffset = kIdx * mStride(512)
_v_add_u32 v1, v2, v1                              // 6. offset in wave: lrOffset = bnOffset + lrKOffset
v_lshrrev_b32 v3, 6, v[vgprSerial]                 // 7. wave offset in N dimen: wtid = tid / dividedForWaveId(64)
v_and_b32 v2, 3, v3                                // 7. wave offset in M dimen: wtid0 = wtid / num1DWaves(4)
v_lshlrev_b32 v2, 0x5, v2                          // 7. wave offset in M dimen: wOffset = wtid0 * W0Stride(32)
_v_add_u32 v1, v2, v1                              // 8. final local read offset: flrOffset = lrOffset + WOffset


/* local read addresses: final offsets a */

v_lshlrev_b32 v[vgprLocalReadAddrA], 0x1, v0       // Final Offset: offset = (lro0)*bpe


/* local read addresses: final offsets b */

v_lshlrev_b32 v[vgprLocalReadAddrB], 0x1, v1       // Final Offset: offset = (lro1)*bpe


/* local read addresses: declare addresses a */

/* N/A */


/* local read addresses: declare addresses b */

_v_add_co_u32 v[vgprLocalReadAddrB+0], vcc, 0x800, v[vgprLocalReadAddrB+0] //  += LdsOffsetB (lower)


/* global read addresses: tile offset assignment a */

/* LVCA = 8 */
/* v0 = (local)groA-tile = serial%LVCA (note (wgA*MTA) will be added to SRD) */
/* v1 = groA-unroll = serial/LVCA */
v_lshrrev_b32 v1, 3, v[vgprSerial]                 // v1 = v[vgprSerial] / 8
v_and_b32 v0, 7, v[vgprSerial]                     // v0 = v[vgprSerial] % 8
/* gro-tile *= glvw */
v_lshlrev_b32 v0, 0x2, v0                          // v0 = v0 * 4
v_mov_b32 v2, v1                                   // copy for GlobalSplitU


/* global read addresses: tile offset assignment b */

/* LVCB = 16 */
/* v3 = (local)groB-tile = serial%LVCB (note (wgB*MTB) will be added to SRD) */
/* v4 = groB-unroll = serial/LVCB */
v_lshrrev_b32 v4, 4, v[vgprSerial]                 // v4 = v[vgprSerial] / 16
v_and_b32 v3, 15, v[vgprSerial]                    // v3 = v[vgprSerial] % 16
/* gro-tile *= glvw */
v_lshlrev_b32 v3, 0x3, v3                          // v3 = v3 * 8
v_mov_b32 v5, v4                                   // copy for GlobalSplitU


/******************************************/
/* Local Write Addresses                  */
/******************************************/

/* lwaTileAssignmentA = v0 */

/* lwaTileAssignmentB = v3 */

/* lwaUnrollAssignmentA = v2 */

/* lwaUnrollAssignmentB = v5 */


/* local write addresses: first offset a */

v_mul_u32_u24 v[vgprLocalWriteAddrA], 0x20, v2     // lwAL**(MTA + PAD)
_v_add_lshl_u32 v[vgprLocalWriteAddrA], v0, v[vgprLocalWriteAddrA], 0x1 // lwFOA = (lwAA + lwAL*(MT0I+PAD))*bpe


/* local write addresses: first offset b */

v_mul_u32_u24 v[vgprLocalWriteAddrB], 0x80, v5     // lwBL**(MTB + PAD)
_v_add_lshl_u32 v[vgprLocalWriteAddrB], v3, v[vgprLocalWriteAddrB], 0x1 // lwFOB = (lwBB + lwBL*(MT1J+PAD))*bpe
_v_add_co_u32 v[vgprLocalWriteAddrB], vcc, 0x800, v[vgprLocalWriteAddrB] // lwFOB = lwB1J + lwBL*MT1J + LDS_OFFSET_B=1024*2







s_waitcnt lgkmcnt(0)                               // wait for 124 bytes of kern args
s_mov_b64 s[sgprSrdC+0:sgprSrdC+0+1], s[sgprAddressC+0:sgprAddressC+0+1] // copy addressC
s_mov_b64 s[sgprSrdD+0:sgprSrdD+0+1], s[sgprAddressD+0:sgprAddressD+0+1] // copy addressD
s_sub_u32 s[sgprSrdA+0], s[sgprAddressA+0], 8      // pre-pad to make room for possible pointer shift
s_subb_u32 s[sgprSrdA+1], s[sgprAddressA+1], 0     // pre-pad to make room for possible pointer shift
s_sub_u32 s[sgprSrdB+0], s[sgprAddressB+0], 16     // pre-pad to make room for possible pointer shift
s_subb_u32 s[sgprSrdB+1], s[sgprAddressB+1], 0     // pre-pad to make room for possible pointer shift

.set AddressD, UNDEF
.set AddressC, UNDEF
.set AddressA, UNDEF
.set AddressB, UNDEF

/* Short circuit condition if Alpha == 0, then sumDims=0 */
v_cmp_eq_f32 vcc, s[sgprAlpha], 0.0                // Alpha == 0.0f ?
s_cbranch_vccz label_AlphaNonZero                  // branch if alpha != 0
s_mov_b32 s[sgprSizesSum+0], 0x0                   // Set summation dim=0 if Alpha == 0
label_AlphaNonZero:


	;; [unrolled: 1-line block ×3, first 2 shown]
/******************************************/
/* Begin setupNewTile, isPap=False           */
/******************************************/


/* global read addresses: work-group */

/* graWorkGroup mapping */
// GSU-not-WGMapRR :nwg1 = (size1J + MT1J - 1) / MT1J;
s_mov_b32 s38, s[sgprWorkGroup1]                   // copying for divisor
s_mov_b32 s37, 0x0                                 // STATIC_DIV: divisior=11
s_mul_i32 s36, 0x2e8b, s38                         // tmp1 = dividend * magic hi
s_lshl_b64 s[36:37], s[36:37], 0x10                // left shift 16 bits
s_mul_i32 s[sgprWorkGroup1], s38, 0xa2e9           // tmp0 = dividend * magic lo
s_add_u32 s36, s[sgprWorkGroup1], s36              // add lo
s_addc_u32 s37, s37, 0x0                           // add hi
s_lshr_b64 s[36:37], s[36:37], 0x21                // tmp1 = (dividend * magic) << shift
s_mov_b32 s[sgprWorkGroup1], s36                   // quotient
s_mul_i32 s36, s[sgprWorkGroup1], 0xb              // quotient*divisor
s_sub_u32 s[sgprGSUSumIdx], s38, s36               // rReg = dividend - quotient*divisor
s_mov_b32 s39, 0x10000001L                         // magic number for WGM==8
s_mul_hi_u32 s37, s[sgprWorkGroup1], s39           // s_magic mul
s_mul_i32 s36, s[sgprWorkGroup1], s39              // s_magic mul
s_lshr_b64 s[36:37], s[36:37], 31                  // sMagicDiv
s_mul_i32 s37, s36, 8                              // quotient * non-magic divisor
s_sub_u32 s37, s[sgprWorkGroup1], s37              // WorkGroup1=remainder
s_mul_i32 s37, s37, s[sgprNumWorkGroups0]          // (wg1 % WGM)*nwg0
s_add_u32 s37, s37, s[sgprWorkGroup0]              // wgSerial = wg0 + (wg1 % WGM)*nwg1
s_cmp_ge_u32 s36, s[sgprNumFullBlocks]             // blockId >= numFullBlocks ?
s_cmov_b32 s39, s[sgprMagicNumberWgmRemainder1]    // 
s_cselect_b32 s38, s[sgprWgmRemainder1], 8         // 
s_mul_hi_u32 s3, s37, s39                          // s_magic mul
s_mul_i32 s2, s37, s39                             // s_magic mul
s_lshr_b64 s[2:3], s[2:3], 31                      // sMagicDiv
s_mul_i32 s[sgprWorkGroup1], s[sgprWorkGroup0], s38 // quotient * non-magic divisor
s_sub_u32 s[sgprWorkGroup1], s37, s[sgprWorkGroup1] // WorkGroup1=remainder
s_mul_i32 s36, s36, 8                              // blockId * WGM
s_add_u32 s[sgprWorkGroup1], s[sgprWorkGroup1], s36 // wg1 += blockId * WGM


/* global read addresses: unroll assignment a */

/* v1 */


/* global read addresses: unroll assignment b */

/* v4 */


/* global read addresses: other free assignments */

/* s[sgprWorkGroup2] */


/* global read addresses: tile offsets a */

v_mov_b32 v6, v0                                   // groA0I_0


/* global read addresses: tile offsets b */

v_mov_b32 v7, v3                                   // groB1J_0


/* global read addresses: unroll offsets a */

v_mov_b32 v8, v1                                   // groAL_0


/* global read addresses: unroll offsets b */

v_mov_b32 v9, v4                                   // groBL_0
_v_add_co_u32 v10, vcc, 16, v9                     // groBL_1 + LSPB


/* global read addresses: shift a */

s_mul_i32 s35, s[sgprWorkGroup0], 32               // WorkGroup[01] * MT
s_sub_u32 s35, s[sgprSizeI], s35                   // edge = Size0I - WG*MT
s_sub_u32 s35, s35, 4                              // edge -= margin(4)
v_mov_b32 v11, s35                                 // edge vgpr = Size0I- WG*MT - margin(4)
v_min_i32 v6, v11, v6                              // offset = (offset < edge) ? offset(v6) : edge(v11)


/* global read addresses: shift b */

s_mul_i32 s35, s[sgprWorkGroup1], 128              // WorkGroup[01] * MT
s_sub_u32 s35, s[sgprSizeJ], s35                   // edge = Size1J - WG*MT
s_sub_u32 s35, s35, 8                              // edge -= margin(8)
v_mov_b32 v11, s35                                 // edge vgpr = Size1J- WG*MT - margin(8)
v_min_i32 v7, v11, v7                              // offset = (offset < edge) ? offset(v7) : edge(v11)


/* global read addresses: final offsets a */

GLOBAL_OFFSET_A vgprGlobalReadOffsetA+0,  6,  8, 11 // gROA_0_0_0_0


/* global read addresses: final offsets b */

GLOBAL_OFFSET_B vgprGlobalReadOffsetB+0,  7,  9, 11 // gROB_0_0_0_0
GLOBAL_OFFSET_B vgprGlobalReadOffsetB+1,  7, 10, 11 // gROB_0_0_1_0


/* global read addresses: addresses a */

/* max read offset = size[n] * stride[n-1] */
s_mul_hi_u32 s39, s[sgprWorkGroup0], 32            // WorkGroup[01] * MT
s_mul_i32 s38, s[sgprWorkGroup0], 32               // WorkGroup[01] * MT
s_mul_hi_u32 s37, 32, s[sgprGSUSumIdx]             // gsuOffset = DepthU*bpe*GSUSumIdx
s_mul_i32 s36, 32, s[sgprGSUSumIdx]                // gsuOffset = DepthU*bpe*GSUSumIdx
s_mul_hi_u32 s37, s36, s[sgprStrideAL]             // tlu=1, scaled unroll-offset by stride
s_mul_i32 s36, s36, s[sgprStrideAL]                // tlu=1, scaled unroll-offset by stride
s_add_u32 s38, s38, s36                            // accum GsuOffset term to tilestart
s_addc_u32 s39, s39, s37                           // accum GsuOffset term to tilestart
s_sub_u32 s[sgprShadowLimitA+0], s[sgprTensor2dSizeA], s38 // sub tileStart
s_subb_u32 s[sgprShadowLimitA+1], s[sgprTensor2dSizeA+1], s39 // sub tileStart
s_lshl_b64 s[sgprShadowLimitA:sgprShadowLimitA+1], s[sgprShadowLimitA:sgprShadowLimitA+1], 0x1 // Set limit to use bytes
s_add_u32 s[sgprShadowLimitA+0], s[sgprShadowLimitA+0], 8 // extend limit for pre-pad
s_addc_u32 s[sgprShadowLimitA+1], s[sgprShadowLimitA+1], 0 // extend limit for pre-pad
s_cmp_eq_u32 s[sgprShadowLimitA+1], 0              // are we within 2^32?
s_cselect_b32 s[sgprSrdA+2], s[sgprShadowLimitA+0], BufferLimitA // Move shadow to real if we are within 2^32
s_mul_hi_u32 s37, s[sgprStrideAK], s[sgprWorkGroup2] // Stride*WG
s_mul_i32 s36, s[sgprStrideAK], s[sgprWorkGroup2]  // Stride*WG
s_add_u32 s38, s38, s36                            // accum wg term to tilestart
s_addc_u32 s39, s39, s37                           // accum wg term to tilestart
s_lshl_b64 s[38:39], s[38:39], 0x1                 // tileStart *= BPE
s_add_u32 s[sgprSrdA+0], s[sgprSrdA+0], s38        // SRD base = Address+ tileStart0
s_addc_u32 s[sgprSrdA+1], s[sgprSrdA+1], s39       // SRD base = Address+ tileStart1
s_mov_b32 s[sgprSrdA+3], Srd127_96                 // Set bits 127_96 in SRD


/* global read addresses: addresses b */

/* max read offset = size[n] * stride[n-1] */
s_mul_hi_u32 s39, s[sgprWorkGroup1], 128           // WorkGroup[01] * MT
s_mul_i32 s38, s[sgprWorkGroup1], 128              // WorkGroup[01] * MT
s_mul_hi_u32 s37, 32, s[sgprGSUSumIdx]             // gsuOffset = DepthU*bpe*GSUSumIdx
s_mul_i32 s36, 32, s[sgprGSUSumIdx]                // gsuOffset = DepthU*bpe*GSUSumIdx
s_mul_hi_u32 s37, s36, s[sgprStrideBL]             // tlu=1, scaled unroll-offset by stride
s_mul_i32 s36, s36, s[sgprStrideBL]                // tlu=1, scaled unroll-offset by stride
s_add_u32 s38, s38, s36                            // accum GsuOffset term to tilestart
s_addc_u32 s39, s39, s37                           // accum GsuOffset term to tilestart
s_sub_u32 s[sgprShadowLimitB+0], s[sgprTensor2dSizeB], s38 // sub tileStart
s_subb_u32 s[sgprShadowLimitB+1], s[sgprTensor2dSizeB+1], s39 // sub tileStart
s_lshl_b64 s[sgprShadowLimitB:sgprShadowLimitB+1], s[sgprShadowLimitB:sgprShadowLimitB+1], 0x1 // Set limit to use bytes
s_add_u32 s[sgprShadowLimitB+0], s[sgprShadowLimitB+0], 16 // extend limit for pre-pad
s_addc_u32 s[sgprShadowLimitB+1], s[sgprShadowLimitB+1], 0 // extend limit for pre-pad
s_cmp_eq_u32 s[sgprShadowLimitB+1], 0              // are we within 2^32?
s_cselect_b32 s[sgprSrdB+2], s[sgprShadowLimitB+0], BufferLimitB // Move shadow to real if we are within 2^32
s_mul_hi_u32 s37, s[sgprStrideBK], s[sgprWorkGroup2] // Stride*WG
s_mul_i32 s36, s[sgprStrideBK], s[sgprWorkGroup2]  // Stride*WG
s_add_u32 s38, s38, s36                            // accum wg term to tilestart
s_addc_u32 s39, s39, s37                           // accum wg term to tilestart
s_lshl_b64 s[38:39], s[38:39], 0x1                 // tileStart *= BPE
s_add_u32 s[sgprSrdB+0], s[sgprSrdB+0], s38        // SRD base = Address+ tileStart0
s_addc_u32 s[sgprSrdB+1], s[sgprSrdB+1], s39       // SRD base = Address+ tileStart1
s_mov_b32 s[sgprSrdB+3], Srd127_96                 // Set bits 127_96 in SRD


/* global read addresses: increments a */

s_mul_i32 s[sgprGlobalReadIncsA+0], DepthU*BpeA*11, s[sgprStrideAL] // incrA unrollIdx)


/* global read addresses: increments b */

s_mul_i32 s[sgprGlobalReadIncsB+0], DepthU*BpeB*11, s[sgprStrideBL] // incrB unrollIdx)

/* declare loop num iterations */


s_lshr_b32 s[sgprLoopCounterL], s[sgprSizesSum+0], 5 // s[sgprLoopCounterL] = s[sgprSizesSum+0] / 32
v_mov_b32 v2, s[sgprLoopCounterL]                  // copy for divide IterGsu
s_mov_b32 s36, 0x2e8ba2e9                          // v0 = v2 / 11
v_mul_hi_u32 v0, v2, s36                           // v0 = v2 / 11
v_lshrrev_b32 v0, 0x1, v0                          // v0 = v2 / 11
s_mov_b32 s36, 0xb                                 // v1 = v2 % 11
v_mul_lo_u32 v1, v0, s36                           // v1 = v2 % 11
_v_sub_u32 v1, v2, v1                              // v1 = v2 % 11
v_readfirstlane_b32 s[sgprLoopCounterL], v0        // 
v_readfirstlane_b32 s[sgprGSUSumIdx+1], v1         // 
s_add_u32 s36, 1, s[sgprLoopCounterL]              // tmp<-numIterMyWg+
s_cmp_lt_u32 s[sgprGSUSumIdx], s[sgprGSUSumIdx+1]  // gsuSumIdx < numIterPerWgRemainder
s_cmov_b32 s[sgprLoopCounterL], s36                // numIterMyWg++ if needed
s_mov_b32 s[sgprOrigLoopCounter], s[sgprLoopCounterL] // copy loop counter

/* local read addresses: init pointers a */


/* localReadInitPointers */

/* local read addresses: init pointers b */


/* localReadInitPointers */


/* prefetch: global -> local */

s_cmp_eq_u32 s[sgprLoopCounterL], 0                // at last iteration?
s_setprio 0                                        // optimization store
s_cbranch_scc1 ShadowInitStart_10                  // skip to ShadowInitStart iter b/c numIter==0


_buffer_load_b64 v[vgprG2LA+0:vgprG2LA+0+1], v[vgprGlobalReadOffsetA+0], s[sgprSrdA:sgprSrdA+3], 0, offen offset:0 // G -> Reg 0_0_0_0


_buffer_load_b128 v[vgprG2LB+0:vgprG2LB+0+3], v[vgprGlobalReadOffsetB+0], s[sgprSrdB:sgprSrdB+3], 0, offen offset:0 // G -> Reg 0_0_0_0
_buffer_load_b128 v[vgprG2LB+4:vgprG2LB+4+3], v[vgprGlobalReadOffsetB+1], s[sgprSrdB:sgprSrdB+3], 0, offen offset:0 // G -> Reg 0_0_1_0


/* global read inc A loopL */
s_add_u32 s[sgprSrdA+0], s[sgprSrdA+0], s[sgprGlobalReadIncsA+0] // gra SRD += inc(lower)
s_addc_u32  s[sgprSrdA+1], s[sgprSrdA+1], 0        // gra SRD += inc(upper)
s_sub_u32 s[sgprShadowLimitA+0], s[sgprShadowLimitA+0], s[sgprGlobalReadIncsA+0] // limit -= inc)
s_subb_u32 s[sgprShadowLimitA+1], s[sgprShadowLimitA+1], 0 // limit -= inc)
s_cmp_eq_u32 s[sgprShadowLimitA+1], 0              // are we within 2^32?
s_cmov_b32 s[sgprSrdA+2], s[sgprShadowLimitA+0]    // Move shadow to real if we are within 2^32

/* global read inc B loopL */
s_add_u32 s[sgprSrdB+0], s[sgprSrdB+0], s[sgprGlobalReadIncsB+0] // gra SRD += inc(lower)
s_addc_u32  s[sgprSrdB+1], s[sgprSrdB+1], 0        // gra SRD += inc(upper)
s_sub_u32 s[sgprShadowLimitB+0], s[sgprShadowLimitB+0], s[sgprGlobalReadIncsB+0] // limit -= inc)
s_subb_u32 s[sgprShadowLimitB+1], s[sgprShadowLimitB+1], 0 // limit -= inc)
s_cmp_eq_u32 s[sgprShadowLimitB+1], 0              // are we within 2^32?
s_cmov_b32 s[sgprSrdB+2], s[sgprShadowLimitB+0]    // Move shadow to real if we are within 2^32


/******************************************/
/* End setupNewTile, isPap=False             */
/******************************************/

ShadowInitStart_10: // 

s_mov_b32 s[sgprSrdD+2], BufferOOB                 // 
s_mov_b32 s[sgprSrdD+3], Srd127_96                 // Set bits 127_96 in post-loop SRD

s_mov_b32 s[sgprSrdC+2], BufferOOB                 // 
s_mov_b32 s[sgprSrdC+3], Srd127_96                 // Set bits 127_96 in post-loop SRD


s_mul_i32 s38, MT1, s[sgprWorkGroup1]              // <- wg1*MT1
s_mul_hi_u32 s37, s38, s[sgprStrideC1J]            // CScale s38 by Stride
s_mul_i32 s36, s38, s[sgprStrideC1J]               // CScale s38 by Stride
s_lshl_b64 s[36:37], s[36:37], 2                   // scale by bpe
s_add_u32 s[sgprSrdC+0], s[sgprSrdC+0], s36        // add lo to SRD
s_addc_u32 s[sgprSrdC+1], s[sgprSrdC+1], s37       // add hi to SRD
s_mul_hi_u32 s37, s38, s[sgprStrideD1J]            // Scale s38 by Stride
s_mul_i32 s36, s38, s[sgprStrideD1J]               // Scale s38 by Stride
s_lshl_b64 s[36:37], s[36:37], 2                   // scale by bpe
s_add_u32 s[sgprSrdD+0], s[sgprSrdD+0], s36        // add lo to SRD
s_addc_u32 s[sgprSrdD+1], s[sgprSrdD+1], s37       // add hi to SRD

s_mul_hi_u32 s37, s[sgprWorkGroup2], s[sgprStrideCK] // CScale s[sgprWorkGroup2] by Stride
s_mul_i32 s36, s[sgprWorkGroup2], s[sgprStrideCK]  // CScale s[sgprWorkGroup2] by Stride
s_lshl_b64 s[36:37], s[36:37], 2                   // scale by bpe
s_add_u32 s[sgprSrdC+0], s[sgprSrdC+0], s36        // add lo to SRD
s_addc_u32 s[sgprSrdC+1], s[sgprSrdC+1], s37       // add hi to SRD
s_mul_hi_u32 s37, s[sgprWorkGroup2], s[sgprStrideDK] // Scale s[sgprWorkGroup2] by Stride
s_mul_i32 s36, s[sgprWorkGroup2], s[sgprStrideDK]  // Scale s[sgprWorkGroup2] by Stride
s_lshl_b64 s[36:37], s[36:37], 2                   // scale by bpe
s_add_u32 s[sgprSrdD+0], s[sgprSrdD+0], s36        // add lo to SRD
s_addc_u32 s[sgprSrdD+1], s[sgprSrdD+1], s37       // add hi to SRD

// GSU Output Buffer offset: Free0 + (Free1-1)*StrideC1J + (Free2-1)*StrideCK * GSUIdx * bpe
s_mul_hi_u32 s11, s[sgprSizesFree+0], s[sgprGSUSumIdx] // Free0
s_mul_i32 s10, s[sgprSizesFree+0], s[sgprGSUSumIdx] // Free0
s_sub_u32 s35, s[sgprSizesFree+1], 1               // Free1
s_mul_i32 s35, s35, s[sgprGSUSumIdx]               // Free1
s_mul_hi_u32 s61, s35, s[sgprStrideC1J]            // Free1
s_mul_i32 s60, s35, s[sgprStrideC1J]               // Free1
s_add_u32 s10, s10, s60                            // Free1
s_addc_u32 s11, s11, s61                           // Free1
s_sub_u32 s35, s[sgprSizesFree+2], 1               // Free2
s_mul_i32 s35, s35, s[sgprGSUSumIdx]               // Free2
s_mul_hi_u32 s61, s35, s[sgprStrideCK]             // Free2
s_mul_i32 s60, s35, s[sgprStrideCK]                // Free2
s_add_u32 s10, s10, s60                            // Free2
s_addc_u32 s11, s11, s61                           // Free2
s_lshl_b64 s[10:11], s[10:11], 2                   // scale by bpe
s_add_u32 s[sgprSrdD+0], s[sgprSrdD+0], s10        // add lo GSU offset to SRD
s_addc_u32 s[sgprSrdD+1], s[sgprSrdD+1], s11       // add hi GSU offset to SRD


/* initC: remove C-tile 0-0 from pool */

/* initC: remove AB-tile 0-16 from pool */
v_accvgpr_write acc0, 0x0                          // initC
v_accvgpr_write acc1, 0x0                          // initC
v_accvgpr_write acc2, 0x0                          // initC
v_accvgpr_write acc3, 0x0                          // initC
v_accvgpr_write acc4, 0x0                          // initC
v_accvgpr_write acc5, 0x0                          // initC
v_accvgpr_write acc6, 0x0                          // initC
v_accvgpr_write acc7, 0x0                          // initC
v_accvgpr_write acc8, 0x0                          // initC
v_accvgpr_write acc9, 0x0                          // initC
v_accvgpr_write acc10, 0x0                         // initC
v_accvgpr_write acc11, 0x0                         // initC
v_accvgpr_write acc12, 0x0                         // initC
v_accvgpr_write acc13, 0x0                         // initC
v_accvgpr_write acc14, 0x0                         // initC
v_accvgpr_write acc15, 0x0                         // initC

s_cmp_eq_u32 s[sgprLoopCounterL], 0                // at last iteration?

/* after InitC, skip to end of prefetch last iter if numIter==0 */
s_cbranch_scc0 label_NoBranch_11                   // Only branch on scc1
s_getpc_B64 s[36:37]                               // addr of next instr
s_add_i32 s38, PrefetchGlobalLastIterEnd_5, 0x4    // target branch offset
s_add_u32 s36, s36, s38                            // add target branch offset
s_addc_u32 s37, s37, 0                             // add high and carry
s_setpc_b64 s[36:37]                               // branch to PrefetchGlobalLastIterEnd_5
label_NoBranch_11:

s_waitcnt vmcnt(0)                                 // lgkmcnt=-1 vmcnt=0 8wait for global read


/* local write a */
v_cvt_f32_f16 v[vgprG2Lpipe0], v[vgprG2LA+0]       // 
v_cvt_f32_f16 v[vgprG2Lpipe1], v[vgprG2LA+0], src0_sel:WORD_1 // 
v_pack_b32_f16 v[vgprG2LA+0], v[vgprG2Lpipe0], v[vgprG2Lpipe1], op_sel:[1,1,0] // 
v_cvt_f32_f16 v[vgprG2Lpipe0], v[vgprG2LA+1]       // 
v_cvt_f32_f16 v[vgprG2Lpipe1], v[vgprG2LA+1], src0_sel:WORD_1 // 
v_pack_b32_f16 v[vgprG2LA+1], v[vgprG2Lpipe0], v[vgprG2Lpipe1], op_sel:[1,1,0] // 
_ds_store_b64 v[vgprLocalWriteAddrA], v[vgprG2LA+0:vgprG2LA+0+1] offset:0 // lwoA_0_0_0_0 = (0*LSCA) + (0*LSPA)(*MT0I+PAD) = 0

/* local write b */
v_cvt_f32_f16 v[vgprG2Lpipe0], v[vgprG2LB+0]       // 
v_cvt_f32_f16 v[vgprG2Lpipe1], v[vgprG2LB+0], src0_sel:WORD_1 // 
v_pack_b32_f16 v[vgprG2LB+0], v[vgprG2Lpipe0], v[vgprG2Lpipe1], op_sel:[1,1,0] // 
v_cvt_f32_f16 v[vgprG2Lpipe0], v[vgprG2LB+1]       // 
v_cvt_f32_f16 v[vgprG2Lpipe1], v[vgprG2LB+1], src0_sel:WORD_1 // 
v_pack_b32_f16 v[vgprG2LB+1], v[vgprG2Lpipe0], v[vgprG2Lpipe1], op_sel:[1,1,0] // 
	;; [unrolled: 3-line block ×4, first 2 shown]
_ds_store_b128 v[vgprLocalWriteAddrB], v[vgprG2LB+0:vgprG2LB+0+3] offset:0 // lwoB_0_0_0_0 = (0*LSCB) + (0*LSPB)(*MT1J+PAD) = 0
v_cvt_f32_f16 v[vgprG2Lpipe0], v[vgprG2LB+4]       // 
v_cvt_f32_f16 v[vgprG2Lpipe1], v[vgprG2LB+4], src0_sel:WORD_1 // 
v_pack_b32_f16 v[vgprG2LB+4], v[vgprG2Lpipe0], v[vgprG2Lpipe1], op_sel:[1,1,0] // 
v_cvt_f32_f16 v[vgprG2Lpipe0], v[vgprG2LB+5]       // 
v_cvt_f32_f16 v[vgprG2Lpipe1], v[vgprG2LB+5], src0_sel:WORD_1 // 
v_pack_b32_f16 v[vgprG2LB+5], v[vgprG2Lpipe0], v[vgprG2Lpipe1], op_sel:[1,1,0] // 
	;; [unrolled: 3-line block ×4, first 2 shown]
_ds_store_b128 v[vgprLocalWriteAddrB], v[vgprG2LB+4:vgprG2LB+4+3] offset:4096 // lwoB_0_0_1_0 = (0*LSCB) + (1*LSPB)(*MT1J+PAD) = 4096


/* local write swap a */

v_xor_b32 v[vgprLocalWriteAddrA+0], 0x4000, v[vgprLocalWriteAddrA+0] // swap Red Blk


/* local write swap b */

v_xor_b32 v[vgprLocalWriteAddrB+0], 0x4000, v[vgprLocalWriteAddrB+0] // swap Red Blk


	;; [unrolled: 1-line block ×3, first 2 shown]
s_cmp_eq_u32 s[sgprLoopCounterL] 0x1               // PGR=2 but only 1 loop
s_cbranch_scc1 label_0012                          // PGR=2 but only 1 loop


_buffer_load_b64 v[vgprG2LA+0:vgprG2LA+0+1], v[vgprGlobalReadOffsetA+0], s[sgprSrdA:sgprSrdA+3], 0, offen offset:0 // G -> Reg 0_0_0_0


_buffer_load_b128 v[vgprG2LB+0:vgprG2LB+0+3], v[vgprGlobalReadOffsetB+0], s[sgprSrdB:sgprSrdB+3], 0, offen offset:0 // G -> Reg 0_0_0_0
_buffer_load_b128 v[vgprG2LB+4:vgprG2LB+4+3], v[vgprGlobalReadOffsetB+1], s[sgprSrdB:sgprSrdB+3], 0, offen offset:0 // G -> Reg 0_0_1_0

label_0012:                                        // 

s_waitcnt lgkmcnt(0)                               // lgkmcnt=0 vmcnt=-10prefetch wait for local write

// Skip force waitcnt0
s_barrier //


/* local read prefetch a */

_ds_load_u16 v[vgprValuA_X0_I0+0], v[vgprLocalReadAddrA] offset:0 // L -> Reg lro=0 swapByteOffset=0 ti=32 vIdx=0 rIdx=0 oIdx=0 buffer=0 iui=0
_ds_load_u16_d16_hi v37, v[vgprLocalReadAddrA] offset:64 // L -> Reg lro=0 swapByteOffset=0 ti=32 vIdx=0 rIdx=1 oIdx=0 buffer=0 iui=0
_ds_load_u16 v[vgprValuA_X0_I0+1], v[vgprLocalReadAddrA] offset:128 // L -> Reg lro=0 swapByteOffset=0 ti=32 vIdx=0 rIdx=2 oIdx=0 buffer=0 iui=0
_ds_load_u16_d16_hi v38, v[vgprLocalReadAddrA] offset:192 // L -> Reg lro=0 swapByteOffset=0 ti=32 vIdx=0 rIdx=3 oIdx=0 buffer=0 iui=0


/* local read prefetch b */

_ds_load_u16 v[vgprValuB_X0_I0+0], v[vgprLocalReadAddrB] offset:0 // L -> Reg lro=0 swapByteOffset=0 ti=128 vIdx=0 rIdx=0 oIdx=0 buffer=0 iui=0
_ds_load_u16_d16_hi v39, v[vgprLocalReadAddrB] offset:256 // L -> Reg lro=0 swapByteOffset=0 ti=128 vIdx=0 rIdx=1 oIdx=0 buffer=0 iui=0
_ds_load_u16 v[vgprValuB_X0_I0+1], v[vgprLocalReadAddrB] offset:512 // L -> Reg lro=0 swapByteOffset=0 ti=128 vIdx=0 rIdx=2 oIdx=0 buffer=0 iui=0
_ds_load_u16_d16_hi v40, v[vgprLocalReadAddrB] offset:768 // L -> Reg lro=0 swapByteOffset=0 ti=128 vIdx=0 rIdx=3 oIdx=0 buffer=0 iui=0


/* local read inc a */

/* N/A, lro->256 */
/* self.localReadDoCntA 1 self.localReadDoCntB 1 */


/* local read inc b */

/* N/A, lro->1024 */
/* self.localReadDoCntA 1 self.localReadDoCntB 1 */


	;; [unrolled: 1-line block ×3, first 2 shown]
/******************************************/
/* Unrolled Loop(s) - Begin               */
/******************************************/

openLoopL_13:
s_cmp_eq_u32 s[sgprLoopCounterL], 0x1              // LoopCounterL < EndCounter
s_cbranch_scc1 label_0014                          // PGR=2 but only 1 loop, toPGR1
s_cmp_le_u32 s[sgprLoopCounterL], 0x2              // LoopCounterL < EndCounter
s_cbranch_scc1 LoopEndL_2                          // do not enter LoopL
LoopBeginL_1:


/******************************************/
/* Unrolled Loop 1/1 - Begin              */
/******************************************/

label_0015: // LoopCopy1 


/* Begin Each Unroll: Check VGPR.checkin for INT8 LW */


	;; [unrolled: 1-line block ×3, first 2 shown]
/* iter 0 */

/*  grEndMfmaIndex:1, lwStartMfmaIndex:1, lwEndMfmaIndex:1  */
/*  numMfmaForLR:0, barrierMfmaIndex:3, LocalWritePerMfma:3.000 */
/*  mfmaIndex:0  */
_ds_load_u16 v[vgprValuA_X1_I0+0], v[vgprLocalReadAddrA] offset:512 // L -> Reg lro=256 swapByteOffset=0 ti=32 vIdx=0 rIdx=0 oIdx=0 buffer=1 iui=0
_ds_load_u16_d16_hi v41, v[vgprLocalReadAddrA] offset:576 // L -> Reg lro=256 swapByteOffset=0 ti=32 vIdx=0 rIdx=1 oIdx=0 buffer=1 iui=0
_ds_load_u16 v[vgprValuA_X1_I0+1], v[vgprLocalReadAddrA] offset:640 // L -> Reg lro=256 swapByteOffset=0 ti=32 vIdx=0 rIdx=2 oIdx=0 buffer=1 iui=0
_ds_load_u16_d16_hi v42, v[vgprLocalReadAddrA] offset:704 // L -> Reg lro=256 swapByteOffset=0 ti=32 vIdx=0 rIdx=3 oIdx=0 buffer=1 iui=0
_ds_load_u16 v[vgprValuB_X1_I0+0], v[vgprLocalReadAddrB] offset:2048 // L -> Reg lro=1024 swapByteOffset=0 ti=128 vIdx=0 rIdx=0 oIdx=0 buffer=1 iui=0
_ds_load_u16_d16_hi v43, v[vgprLocalReadAddrB] offset:2304 // L -> Reg lro=1024 swapByteOffset=0 ti=128 vIdx=0 rIdx=1 oIdx=0 buffer=1 iui=0
_ds_load_u16 v[vgprValuB_X1_I0+1], v[vgprLocalReadAddrB] offset:2560 // L -> Reg lro=1024 swapByteOffset=0 ti=128 vIdx=0 rIdx=2 oIdx=0 buffer=1 iui=0
_ds_load_u16_d16_hi v44, v[vgprLocalReadAddrB] offset:2816 // L -> Reg lro=1024 swapByteOffset=0 ti=128 vIdx=0 rIdx=3 oIdx=0 buffer=1 iui=0

/* global read inc A loopL */
s_add_u32 s[sgprSrdA+0], s[sgprSrdA+0], s[sgprGlobalReadIncsA+0] // gra SRD += inc(lower)
s_addc_u32  s[sgprSrdA+1], s[sgprSrdA+1], 0        // gra SRD += inc(upper)
s_sub_u32 s[sgprShadowLimitA+0], s[sgprShadowLimitA+0], s[sgprGlobalReadIncsA+0] // limit -= inc)
s_subb_u32 s[sgprShadowLimitA+1], s[sgprShadowLimitA+1], 0 // limit -= inc)
s_cmp_eq_u32 s[sgprShadowLimitA+1], 0              // are we within 2^32?
s_cmov_b32 s[sgprSrdA+2], s[sgprShadowLimitA+0]    // Move shadow to real if we are within 2^32

/* global read inc B loopL */
s_add_u32 s[sgprSrdB+0], s[sgprSrdB+0], s[sgprGlobalReadIncsB+0] // gra SRD += inc(lower)
s_waitcnt lgkmcnt(8)                               // lgkmcnt=0 vmcnt=-1wait for prior local read local write old=0, new=8 newLW=0 newLR=8
/* pack scheduling: packAIdx:2, packBIdx:2 */
v_or_b32 v[vgprValuA_X0_I0+0], v[vgprValuA_X0_I0+0], v37 // pack two half Vgpr to one Vgpr
v_or_b32 v[vgprValuA_X0_I0+1], v[vgprValuA_X0_I0+1], v38 // pack two half Vgpr to one Vgpr
v_or_b32 v[vgprValuB_X0_I0+0], v[vgprValuB_X0_I0+0], v39 // pack two half Vgpr to one Vgpr
v_or_b32 v[vgprValuB_X0_I0+1], v[vgprValuB_X0_I0+1], v40 // pack two half Vgpr to one Vgpr
s_nop  1                                           // VALU packing writes to be consumed by matrix instruction
v_mfma_f32_32x32x8bf16_1k a[0+0:15+0], v[vgprValuB_X0_I0+0+0+0:vgprValuB_X0_I0+0+0+0+1], v[vgprValuA_X0_I0+0+0+0:vgprValuA_X0_I0+0+0+0+1], a[0:15]
/* numPrefetchIter=0 */
/* dataAtIterA=-1 numReadsIterA=1 skipReadsIterA=1 readsPerIterA=4 */
/* dataAtIterB=-1 numReadsIterB=1 skipReadsIterB=1 readsPerIterB=4 */


/* iter 1 (swap and reset local write pointers iteration)  */

/*  grEndMfmaIndex:1, lwStartMfmaIndex:1, lwEndMfmaIndex:1  */
/*  numMfmaForLR:0, barrierMfmaIndex:3, LocalWritePerMfma:3.000 */
/*  mfmaIndex:1  */
_ds_load_u16 v[vgprValuA_X2_I0+0], v[vgprLocalReadAddrA] offset:1024 // L -> Reg lro=512 swapByteOffset=0 ti=32 vIdx=0 rIdx=0 oIdx=0 buffer=2 iui=0
_ds_load_u16_d16_hi v37, v[vgprLocalReadAddrA] offset:1088 // L -> Reg lro=512 swapByteOffset=0 ti=32 vIdx=0 rIdx=1 oIdx=0 buffer=2 iui=0
_ds_load_u16 v[vgprValuA_X2_I0+1], v[vgprLocalReadAddrA] offset:1152 // L -> Reg lro=512 swapByteOffset=0 ti=32 vIdx=0 rIdx=2 oIdx=0 buffer=2 iui=0
_ds_load_u16_d16_hi v38, v[vgprLocalReadAddrA] offset:1216 // L -> Reg lro=512 swapByteOffset=0 ti=32 vIdx=0 rIdx=3 oIdx=0 buffer=2 iui=0
_ds_load_u16 v[vgprValuB_X2_I0+0], v[vgprLocalReadAddrB] offset:4096 // L -> Reg lro=2048 swapByteOffset=0 ti=128 vIdx=0 rIdx=0 oIdx=0 buffer=2 iui=0
_ds_load_u16_d16_hi v39, v[vgprLocalReadAddrB] offset:4352 // L -> Reg lro=2048 swapByteOffset=0 ti=128 vIdx=0 rIdx=1 oIdx=0 buffer=2 iui=0
_ds_load_u16 v[vgprValuB_X2_I0+1], v[vgprLocalReadAddrB] offset:4608 // L -> Reg lro=2048 swapByteOffset=0 ti=128 vIdx=0 rIdx=2 oIdx=0 buffer=2 iui=0
_ds_load_u16_d16_hi v40, v[vgprLocalReadAddrB] offset:4864 // L -> Reg lro=2048 swapByteOffset=0 ti=128 vIdx=0 rIdx=3 oIdx=0 buffer=2 iui=0
s_addc_u32  s[sgprSrdB+1], s[sgprSrdB+1], 0        // gra SRD += inc(upper)
s_sub_u32 s[sgprShadowLimitB+0], s[sgprShadowLimitB+0], s[sgprGlobalReadIncsB+0] // limit -= inc)
s_subb_u32 s[sgprShadowLimitB+1], s[sgprShadowLimitB+1], 0 // limit -= inc)
s_cmp_eq_u32 s[sgprShadowLimitB+1], 0              // are we within 2^32?
s_cmov_b32 s[sgprSrdB+2], s[sgprShadowLimitB+0]    // Move shadow to real if we are within 2^32
s_setprio 3                                        // store optimization
/* sched write - iter 1 writesPerItem=1 */
s_waitcnt vmcnt(0)                                 // lgkmcnt=-1 vmcnt=0wait for global read before writing to local
v_cvt_f32_f16 v[vgprG2Lpipe0], v[vgprG2LA+0]       // 
v_cvt_f32_f16 v[vgprG2Lpipe1], v[vgprG2LA+0], src0_sel:WORD_1 // 
v_pack_b32_f16 v[vgprG2LA+0], v[vgprG2Lpipe0], v[vgprG2Lpipe1], op_sel:[1,1,0] // 
v_cvt_f32_f16 v[vgprG2Lpipe0], v[vgprG2LA+1]       // 
v_cvt_f32_f16 v[vgprG2Lpipe1], v[vgprG2LA+1], src0_sel:WORD_1 // 
v_pack_b32_f16 v[vgprG2LA+1], v[vgprG2Lpipe0], v[vgprG2Lpipe1], op_sel:[1,1,0] // 
_ds_store_b64 v[vgprLocalWriteAddrA], v[vgprG2LA+0:vgprG2LA+0+1] offset:0 // lwoA_0_0_0_0 = (0*LSCA) + (0*LSPA)(*MT0I+PAD) = 0
_buffer_load_b64 v[vgprG2LA+0:vgprG2LA+0+1], v[vgprGlobalReadOffsetA+0], s[sgprSrdA:sgprSrdA+3], 0, offen offset:0 // G -> Reg 0_0_0_0
/* sched write - iter 1 writesPerItem=1 */
s_waitcnt vmcnt(0)                                 // lgkmcnt=-1 vmcnt=0wait for global read before writing to local
v_cvt_f32_f16 v[vgprG2Lpipe0], v[vgprG2LB+0]       // 
v_cvt_f32_f16 v[vgprG2Lpipe1], v[vgprG2LB+0], src0_sel:WORD_1 // 
v_pack_b32_f16 v[vgprG2LB+0], v[vgprG2Lpipe0], v[vgprG2Lpipe1], op_sel:[1,1,0] // 
v_cvt_f32_f16 v[vgprG2Lpipe0], v[vgprG2LB+1]       // 
v_cvt_f32_f16 v[vgprG2Lpipe1], v[vgprG2LB+1], src0_sel:WORD_1 // 
v_pack_b32_f16 v[vgprG2LB+1], v[vgprG2Lpipe0], v[vgprG2Lpipe1], op_sel:[1,1,0] // 
	;; [unrolled: 3-line block ×4, first 2 shown]
_ds_store_b128 v[vgprLocalWriteAddrB], v[vgprG2LB+0:vgprG2LB+0+3] offset:0 // lwoB_0_0_0_0 = (0*LSCB) + (0*LSPB)(*MT1J+PAD) = 0
_buffer_load_b128 v[vgprG2LB+0:vgprG2LB+0+3], v[vgprGlobalReadOffsetB+0], s[sgprSrdB:sgprSrdB+3], 0, offen offset:0 // G -> Reg 0_0_0_0
/* sched write - iter 1 writesPerItem=1 */
s_waitcnt vmcnt(0)                                 // lgkmcnt=-1 vmcnt=0wait for global read before writing to local
v_cvt_f32_f16 v[vgprG2Lpipe0], v[vgprG2LB+4]       // 
v_cvt_f32_f16 v[vgprG2Lpipe1], v[vgprG2LB+4], src0_sel:WORD_1 // 
v_pack_b32_f16 v[vgprG2LB+4], v[vgprG2Lpipe0], v[vgprG2Lpipe1], op_sel:[1,1,0] // 
v_cvt_f32_f16 v[vgprG2Lpipe0], v[vgprG2LB+5]       // 
v_cvt_f32_f16 v[vgprG2Lpipe1], v[vgprG2LB+5], src0_sel:WORD_1 // 
v_pack_b32_f16 v[vgprG2LB+5], v[vgprG2Lpipe0], v[vgprG2Lpipe1], op_sel:[1,1,0] // 
	;; [unrolled: 3-line block ×4, first 2 shown]
_ds_store_b128 v[vgprLocalWriteAddrB], v[vgprG2LB+4:vgprG2LB+4+3] offset:4096 // lwoB_0_0_1_0 = (0*LSCB) + (1*LSPB)(*MT1J+PAD) = 4096
_buffer_load_b128 v[vgprG2LB+4:vgprG2LB+4+3], v[vgprGlobalReadOffsetB+1], s[sgprSrdB:sgprSrdB+3], 0, offen offset:0 // G -> Reg 0_0_1_0

/* local write swap offsets a */
v_xor_b32 v[vgprLocalWriteAddrA+0], 0x4000, v[vgprLocalWriteAddrA+0] // swap Red Blk

/* local write swap offsets b */
v_xor_b32 v[vgprLocalWriteAddrB+0], 0x4000, v[vgprLocalWriteAddrB+0] // swap Red Blk
s_waitcnt lgkmcnt(11)                              // lgkmcnt=0 vmcnt=-1wait for prior local read local write old=0, new=11 newLW=3 newLR=8
/* pack scheduling: packAIdx:2, packBIdx:2 */
v_or_b32 v[vgprValuA_X1_I0+0], v[vgprValuA_X1_I0+0], v41 // pack two half Vgpr to one Vgpr
v_or_b32 v[vgprValuA_X1_I0+1], v[vgprValuA_X1_I0+1], v42 // pack two half Vgpr to one Vgpr
v_or_b32 v[vgprValuB_X1_I0+0], v[vgprValuB_X1_I0+0], v43 // pack two half Vgpr to one Vgpr
v_or_b32 v[vgprValuB_X1_I0+1], v[vgprValuB_X1_I0+1], v44 // pack two half Vgpr to one Vgpr
s_nop  1                                           // VALU packing writes to be consumed by matrix instruction
v_mfma_f32_32x32x8bf16_1k a[0+0:15+0], v[vgprValuB_X1_I0+0+0+0:vgprValuB_X1_I0+0+0+0+1], v[vgprValuA_X1_I0+0+0+0:vgprValuA_X1_I0+0+0+0+1], a[0:15]
/* numPrefetchIter=0 */
/* dataAtIterA=0 numReadsIterA=2 skipReadsIterA=1 readsPerIterA=4 */
/* dataAtIterB=0 numReadsIterB=2 skipReadsIterB=1 readsPerIterB=4 */


/* iter 2 (reset local read pointers iteration)  (swap local read pointers iteration)  */

/*  grEndMfmaIndex:1, lwStartMfmaIndex:1, lwEndMfmaIndex:1  */
/*  numMfmaForLR:0, barrierMfmaIndex:3, LocalWritePerMfma:3.000 */
/*  mfmaIndex:2  */
_ds_load_u16 v[vgprValuA_X3_I0+0], v[vgprLocalReadAddrA] offset:1536 // L -> Reg lro=768 swapByteOffset=0 ti=32 vIdx=0 rIdx=0 oIdx=0 buffer=3 iui=0
_ds_load_u16_d16_hi v41, v[vgprLocalReadAddrA] offset:1600 // L -> Reg lro=768 swapByteOffset=0 ti=32 vIdx=0 rIdx=1 oIdx=0 buffer=3 iui=0
_ds_load_u16 v[vgprValuA_X3_I0+1], v[vgprLocalReadAddrA] offset:1664 // L -> Reg lro=768 swapByteOffset=0 ti=32 vIdx=0 rIdx=2 oIdx=0 buffer=3 iui=0
_ds_load_u16_d16_hi v42, v[vgprLocalReadAddrA] offset:1728 // L -> Reg lro=768 swapByteOffset=0 ti=32 vIdx=0 rIdx=3 oIdx=0 buffer=3 iui=0
_ds_load_u16 v[vgprValuB_X3_I0+0], v[vgprLocalReadAddrB] offset:6144 // L -> Reg lro=3072 swapByteOffset=0 ti=128 vIdx=0 rIdx=0 oIdx=0 buffer=3 iui=0
_ds_load_u16_d16_hi v43, v[vgprLocalReadAddrB] offset:6400 // L -> Reg lro=3072 swapByteOffset=0 ti=128 vIdx=0 rIdx=1 oIdx=0 buffer=3 iui=0
_ds_load_u16 v[vgprValuB_X3_I0+1], v[vgprLocalReadAddrB] offset:6656 // L -> Reg lro=3072 swapByteOffset=0 ti=128 vIdx=0 rIdx=2 oIdx=0 buffer=3 iui=0
_ds_load_u16_d16_hi v44, v[vgprLocalReadAddrB] offset:6912 // L -> Reg lro=3072 swapByteOffset=0 ti=128 vIdx=0 rIdx=3 oIdx=0 buffer=3 iui=0

/* local read swap offsets a */
v_xor_b32 v[vgprLocalReadAddrA], 0x4000, v[vgprLocalReadAddrA] // swap Red Blk

/* local read swap offsets b */
v_xor_b32 v[vgprLocalReadAddrB], 0x4000, v[vgprLocalReadAddrB] // swap Red Blk

/* local read init pointers a */

/* localReadInitPointers */

/* local read init pointers b */

/* localReadInitPointers */
s_waitcnt lgkmcnt(11)                              // lgkmcnt=0 vmcnt=-1wait for prior local read local write old=0, new=11 newLW=3 newLR=8
/* pack scheduling: packAIdx:2, packBIdx:2 */
v_or_b32 v[vgprValuA_X2_I0+0], v[vgprValuA_X2_I0+0], v37 // pack two half Vgpr to one Vgpr
v_or_b32 v[vgprValuA_X2_I0+1], v[vgprValuA_X2_I0+1], v38 // pack two half Vgpr to one Vgpr
v_or_b32 v[vgprValuB_X2_I0+0], v[vgprValuB_X2_I0+0], v39 // pack two half Vgpr to one Vgpr
v_or_b32 v[vgprValuB_X2_I0+1], v[vgprValuB_X2_I0+1], v40 // pack two half Vgpr to one Vgpr
s_nop  1                                           // VALU packing writes to be consumed by matrix instruction
v_mfma_f32_32x32x8bf16_1k a[0+0:15+0], v[vgprValuB_X2_I0+0+0+0:vgprValuB_X2_I0+0+0+0+1], v[vgprValuA_X2_I0+0+0+0:vgprValuA_X2_I0+0+0+0+1], a[0:15]
s_setprio 0                                        // store optimization
/* numPrefetchIter=0 */
/* dataAtIterA=1 numReadsIterA=3 skipReadsIterA=1 readsPerIterA=4 */
/* dataAtIterB=1 numReadsIterB=3 skipReadsIterB=1 readsPerIterB=4 */


/* iter 3 */

/*  grEndMfmaIndex:1, lwStartMfmaIndex:1, lwEndMfmaIndex:1  */
/*  numMfmaForLR:0, barrierMfmaIndex:3, LocalWritePerMfma:3.000 */
/*  mfmaIndex:3  */
s_waitcnt lgkmcnt(0)                               // lgkmcnt=0 vmcnt=-13wait for local write
// Skip force waitcnt0
s_barrier //
_ds_load_u16 v[vgprValuA_X0_I0+0], v[vgprLocalReadAddrA] offset:0 // L -> Reg lro=0 swapByteOffset=0 ti=32 vIdx=0 rIdx=0 oIdx=0 buffer=0 iui=0
_ds_load_u16_d16_hi v37, v[vgprLocalReadAddrA] offset:64 // L -> Reg lro=0 swapByteOffset=0 ti=32 vIdx=0 rIdx=1 oIdx=0 buffer=0 iui=0
_ds_load_u16 v[vgprValuA_X0_I0+1], v[vgprLocalReadAddrA] offset:128 // L -> Reg lro=0 swapByteOffset=0 ti=32 vIdx=0 rIdx=2 oIdx=0 buffer=0 iui=0
_ds_load_u16_d16_hi v38, v[vgprLocalReadAddrA] offset:192 // L -> Reg lro=0 swapByteOffset=0 ti=32 vIdx=0 rIdx=3 oIdx=0 buffer=0 iui=0
_ds_load_u16 v[vgprValuB_X0_I0+0], v[vgprLocalReadAddrB] offset:0 // L -> Reg lro=0 swapByteOffset=0 ti=128 vIdx=0 rIdx=0 oIdx=0 buffer=0 iui=0
_ds_load_u16_d16_hi v39, v[vgprLocalReadAddrB] offset:256 // L -> Reg lro=0 swapByteOffset=0 ti=128 vIdx=0 rIdx=1 oIdx=0 buffer=0 iui=0
_ds_load_u16 v[vgprValuB_X0_I0+1], v[vgprLocalReadAddrB] offset:512 // L -> Reg lro=0 swapByteOffset=0 ti=128 vIdx=0 rIdx=2 oIdx=0 buffer=0 iui=0
_ds_load_u16_d16_hi v40, v[vgprLocalReadAddrB] offset:768 // L -> Reg lro=0 swapByteOffset=0 ti=128 vIdx=0 rIdx=3 oIdx=0 buffer=0 iui=0
s_waitcnt lgkmcnt(8)                               // lgkmcnt=0 vmcnt=-1wait for prior local read local write old=0, new=8 newLW=0 newLR=8
/* pack scheduling: packAIdx:2, packBIdx:2 */
v_or_b32 v[vgprValuA_X3_I0+0], v[vgprValuA_X3_I0+0], v41 // pack two half Vgpr to one Vgpr
v_or_b32 v[vgprValuA_X3_I0+1], v[vgprValuA_X3_I0+1], v42 // pack two half Vgpr to one Vgpr
v_or_b32 v[vgprValuB_X3_I0+0], v[vgprValuB_X3_I0+0], v43 // pack two half Vgpr to one Vgpr
v_or_b32 v[vgprValuB_X3_I0+1], v[vgprValuB_X3_I0+1], v44 // pack two half Vgpr to one Vgpr
s_nop  1                                           // VALU packing writes to be consumed by matrix instruction
v_mfma_f32_32x32x8bf16_1k a[0+0:15+0], v[vgprValuB_X3_I0+0+0+0:vgprValuB_X3_I0+0+0+0+1], v[vgprValuA_X3_I0+0+0+0:vgprValuA_X3_I0+0+0+0+1], a[0:15]
s_setprio 0                                        // store optimization
/* numPrefetchIter=1 */
/* dataAtIterA=2 numReadsIterA=3 skipReadsIterA=1 readsPerIterA=4 */
/* dataAtIterB=2 numReadsIterB=3 skipReadsIterB=1 readsPerIterB=4 */


/******************************************/
/* Unrolled Loop - End                    */
/******************************************/


/* closeLoop loopL finalLoop=1 tailLoop=0 */
s_sub_u32 s[sgprLoopCounterL], s[sgprLoopCounterL], 1 // dec counterL
s_cmp_eq_i32 s[sgprLoopCounterL], 0x2              // counterL==2
s_cbranch_scc0 LoopBeginL_1                        // restart LoopL
LoopEndL_2:


/* Before NLL: Check VGPR.checkin for INT8 LW */


/******************************************/
/* Ord. NoGlobalLoadLoop - Begin                                      */
/******************************************/


	;; [unrolled: 1-line block ×3, first 2 shown]
/* iter 0 */

/*  grEndMfmaIndex:1, lwStartMfmaIndex:1, lwEndMfmaIndex:1  */
/*  numMfmaForLR:0, barrierMfmaIndex:3, LocalWritePerMfma:3.000 */
/*  mfmaIndex:0  */
_ds_load_u16 v[vgprValuA_X1_I0+0], v[vgprLocalReadAddrA] offset:512 // L -> Reg lro=256 swapByteOffset=0 ti=32 vIdx=0 rIdx=0 oIdx=0 buffer=1 iui=0
_ds_load_u16_d16_hi v41, v[vgprLocalReadAddrA] offset:576 // L -> Reg lro=256 swapByteOffset=0 ti=32 vIdx=0 rIdx=1 oIdx=0 buffer=1 iui=0
_ds_load_u16 v[vgprValuA_X1_I0+1], v[vgprLocalReadAddrA] offset:640 // L -> Reg lro=256 swapByteOffset=0 ti=32 vIdx=0 rIdx=2 oIdx=0 buffer=1 iui=0
_ds_load_u16_d16_hi v42, v[vgprLocalReadAddrA] offset:704 // L -> Reg lro=256 swapByteOffset=0 ti=32 vIdx=0 rIdx=3 oIdx=0 buffer=1 iui=0
_ds_load_u16 v[vgprValuB_X1_I0+0], v[vgprLocalReadAddrB] offset:2048 // L -> Reg lro=1024 swapByteOffset=0 ti=128 vIdx=0 rIdx=0 oIdx=0 buffer=1 iui=0
_ds_load_u16_d16_hi v43, v[vgprLocalReadAddrB] offset:2304 // L -> Reg lro=1024 swapByteOffset=0 ti=128 vIdx=0 rIdx=1 oIdx=0 buffer=1 iui=0
_ds_load_u16 v[vgprValuB_X1_I0+1], v[vgprLocalReadAddrB] offset:2560 // L -> Reg lro=1024 swapByteOffset=0 ti=128 vIdx=0 rIdx=2 oIdx=0 buffer=1 iui=0
_ds_load_u16_d16_hi v44, v[vgprLocalReadAddrB] offset:2816 // L -> Reg lro=1024 swapByteOffset=0 ti=128 vIdx=0 rIdx=3 oIdx=0 buffer=1 iui=0

/* global read inc A loopL */
s_add_u32 s[sgprSrdA+0], s[sgprSrdA+0], s[sgprGlobalReadIncsA+0] // gra SRD += inc(lower)
s_addc_u32  s[sgprSrdA+1], s[sgprSrdA+1], 0        // gra SRD += inc(upper)
s_sub_u32 s[sgprShadowLimitA+0], s[sgprShadowLimitA+0], s[sgprGlobalReadIncsA+0] // limit -= inc)
s_subb_u32 s[sgprShadowLimitA+1], s[sgprShadowLimitA+1], 0 // limit -= inc)
s_cmp_eq_u32 s[sgprShadowLimitA+1], 0              // are we within 2^32?
s_cmov_b32 s[sgprSrdA+2], s[sgprShadowLimitA+0]    // Move shadow to real if we are within 2^32

/* global read inc B loopL */
s_add_u32 s[sgprSrdB+0], s[sgprSrdB+0], s[sgprGlobalReadIncsB+0] // gra SRD += inc(lower)
s_waitcnt lgkmcnt(8)                               // lgkmcnt=0 vmcnt=-1wait for prior local read local write old=0, new=8 newLW=0 newLR=8
/* pack scheduling: packAIdx:2, packBIdx:2 */
v_or_b32 v[vgprValuA_X0_I0+0], v[vgprValuA_X0_I0+0], v37 // pack two half Vgpr to one Vgpr
v_or_b32 v[vgprValuA_X0_I0+1], v[vgprValuA_X0_I0+1], v38 // pack two half Vgpr to one Vgpr
v_or_b32 v[vgprValuB_X0_I0+0], v[vgprValuB_X0_I0+0], v39 // pack two half Vgpr to one Vgpr
v_or_b32 v[vgprValuB_X0_I0+1], v[vgprValuB_X0_I0+1], v40 // pack two half Vgpr to one Vgpr
s_nop  1                                           // VALU packing writes to be consumed by matrix instruction
v_mfma_f32_32x32x8bf16_1k a[0+0:15+0], v[vgprValuB_X0_I0+0+0+0:vgprValuB_X0_I0+0+0+0+1], v[vgprValuA_X0_I0+0+0+0:vgprValuA_X0_I0+0+0+0+1], a[0:15]
/* numPrefetchIter=0 */
/* dataAtIterA=-1 numReadsIterA=1 skipReadsIterA=1 readsPerIterA=4 */
/* dataAtIterB=-1 numReadsIterB=1 skipReadsIterB=1 readsPerIterB=4 */


/* iter 1 (swap and reset local write pointers iteration)  */

/*  grEndMfmaIndex:1, lwStartMfmaIndex:1, lwEndMfmaIndex:1  */
/*  numMfmaForLR:0, barrierMfmaIndex:3, LocalWritePerMfma:3.000 */
/*  mfmaIndex:1  */
_ds_load_u16 v[vgprValuA_X2_I0+0], v[vgprLocalReadAddrA] offset:1024 // L -> Reg lro=512 swapByteOffset=0 ti=32 vIdx=0 rIdx=0 oIdx=0 buffer=2 iui=0
_ds_load_u16_d16_hi v37, v[vgprLocalReadAddrA] offset:1088 // L -> Reg lro=512 swapByteOffset=0 ti=32 vIdx=0 rIdx=1 oIdx=0 buffer=2 iui=0
_ds_load_u16 v[vgprValuA_X2_I0+1], v[vgprLocalReadAddrA] offset:1152 // L -> Reg lro=512 swapByteOffset=0 ti=32 vIdx=0 rIdx=2 oIdx=0 buffer=2 iui=0
_ds_load_u16_d16_hi v38, v[vgprLocalReadAddrA] offset:1216 // L -> Reg lro=512 swapByteOffset=0 ti=32 vIdx=0 rIdx=3 oIdx=0 buffer=2 iui=0
_ds_load_u16 v[vgprValuB_X2_I0+0], v[vgprLocalReadAddrB] offset:4096 // L -> Reg lro=2048 swapByteOffset=0 ti=128 vIdx=0 rIdx=0 oIdx=0 buffer=2 iui=0
_ds_load_u16_d16_hi v39, v[vgprLocalReadAddrB] offset:4352 // L -> Reg lro=2048 swapByteOffset=0 ti=128 vIdx=0 rIdx=1 oIdx=0 buffer=2 iui=0
_ds_load_u16 v[vgprValuB_X2_I0+1], v[vgprLocalReadAddrB] offset:4608 // L -> Reg lro=2048 swapByteOffset=0 ti=128 vIdx=0 rIdx=2 oIdx=0 buffer=2 iui=0
_ds_load_u16_d16_hi v40, v[vgprLocalReadAddrB] offset:4864 // L -> Reg lro=2048 swapByteOffset=0 ti=128 vIdx=0 rIdx=3 oIdx=0 buffer=2 iui=0
s_addc_u32  s[sgprSrdB+1], s[sgprSrdB+1], 0        // gra SRD += inc(upper)
s_sub_u32 s[sgprShadowLimitB+0], s[sgprShadowLimitB+0], s[sgprGlobalReadIncsB+0] // limit -= inc)
s_subb_u32 s[sgprShadowLimitB+1], s[sgprShadowLimitB+1], 0 // limit -= inc)
s_cmp_eq_u32 s[sgprShadowLimitB+1], 0              // are we within 2^32?
s_cmov_b32 s[sgprSrdB+2], s[sgprShadowLimitB+0]    // Move shadow to real if we are within 2^32
s_setprio 3                                        // store optimization
/* sched write - iter 1 writesPerItem=1 */
s_waitcnt vmcnt(0)                                 // lgkmcnt=-1 vmcnt=0wait for global read before writing to local
v_cvt_f32_f16 v[vgprG2Lpipe0], v[vgprG2LA+0]       // 
v_cvt_f32_f16 v[vgprG2Lpipe1], v[vgprG2LA+0], src0_sel:WORD_1 // 
v_pack_b32_f16 v[vgprG2LA+0], v[vgprG2Lpipe0], v[vgprG2Lpipe1], op_sel:[1,1,0] // 
v_cvt_f32_f16 v[vgprG2Lpipe0], v[vgprG2LA+1]       // 
v_cvt_f32_f16 v[vgprG2Lpipe1], v[vgprG2LA+1], src0_sel:WORD_1 // 
v_pack_b32_f16 v[vgprG2LA+1], v[vgprG2Lpipe0], v[vgprG2Lpipe1], op_sel:[1,1,0] // 
_ds_store_b64 v[vgprLocalWriteAddrA], v[vgprG2LA+0:vgprG2LA+0+1] offset:0 // lwoA_0_0_0_0 = (0*LSCA) + (0*LSPA)(*MT0I+PAD) = 0
/* sched write - iter 1 writesPerItem=1 */
s_waitcnt vmcnt(0)                                 // lgkmcnt=-1 vmcnt=0wait for global read before writing to local
v_cvt_f32_f16 v[vgprG2Lpipe0], v[vgprG2LB+0]       // 
v_cvt_f32_f16 v[vgprG2Lpipe1], v[vgprG2LB+0], src0_sel:WORD_1 // 
v_pack_b32_f16 v[vgprG2LB+0], v[vgprG2Lpipe0], v[vgprG2Lpipe1], op_sel:[1,1,0] // 
v_cvt_f32_f16 v[vgprG2Lpipe0], v[vgprG2LB+1]       // 
v_cvt_f32_f16 v[vgprG2Lpipe1], v[vgprG2LB+1], src0_sel:WORD_1 // 
v_pack_b32_f16 v[vgprG2LB+1], v[vgprG2Lpipe0], v[vgprG2Lpipe1], op_sel:[1,1,0] // 
	;; [unrolled: 3-line block ×4, first 2 shown]
_ds_store_b128 v[vgprLocalWriteAddrB], v[vgprG2LB+0:vgprG2LB+0+3] offset:0 // lwoB_0_0_0_0 = (0*LSCB) + (0*LSPB)(*MT1J+PAD) = 0
/* sched write - iter 1 writesPerItem=1 */
s_waitcnt vmcnt(0)                                 // lgkmcnt=-1 vmcnt=0wait for global read before writing to local
v_cvt_f32_f16 v[vgprG2Lpipe0], v[vgprG2LB+4]       // 
v_cvt_f32_f16 v[vgprG2Lpipe1], v[vgprG2LB+4], src0_sel:WORD_1 // 
v_pack_b32_f16 v[vgprG2LB+4], v[vgprG2Lpipe0], v[vgprG2Lpipe1], op_sel:[1,1,0] // 
v_cvt_f32_f16 v[vgprG2Lpipe0], v[vgprG2LB+5]       // 
v_cvt_f32_f16 v[vgprG2Lpipe1], v[vgprG2LB+5], src0_sel:WORD_1 // 
v_pack_b32_f16 v[vgprG2LB+5], v[vgprG2Lpipe0], v[vgprG2Lpipe1], op_sel:[1,1,0] // 
	;; [unrolled: 3-line block ×4, first 2 shown]
_ds_store_b128 v[vgprLocalWriteAddrB], v[vgprG2LB+4:vgprG2LB+4+3] offset:4096 // lwoB_0_0_1_0 = (0*LSCB) + (1*LSPB)(*MT1J+PAD) = 4096

/* local write swap offsets a */
v_xor_b32 v[vgprLocalWriteAddrA+0], 0x4000, v[vgprLocalWriteAddrA+0] // swap Red Blk

/* local write swap offsets b */
v_xor_b32 v[vgprLocalWriteAddrB+0], 0x4000, v[vgprLocalWriteAddrB+0] // swap Red Blk
s_waitcnt lgkmcnt(11)                              // lgkmcnt=0 vmcnt=-1wait for prior local read local write old=0, new=11 newLW=3 newLR=8
/* pack scheduling: packAIdx:2, packBIdx:2 */
v_or_b32 v[vgprValuA_X1_I0+0], v[vgprValuA_X1_I0+0], v41 // pack two half Vgpr to one Vgpr
v_or_b32 v[vgprValuA_X1_I0+1], v[vgprValuA_X1_I0+1], v42 // pack two half Vgpr to one Vgpr
v_or_b32 v[vgprValuB_X1_I0+0], v[vgprValuB_X1_I0+0], v43 // pack two half Vgpr to one Vgpr
v_or_b32 v[vgprValuB_X1_I0+1], v[vgprValuB_X1_I0+1], v44 // pack two half Vgpr to one Vgpr
s_nop  1                                           // VALU packing writes to be consumed by matrix instruction
v_mfma_f32_32x32x8bf16_1k a[0+0:15+0], v[vgprValuB_X1_I0+0+0+0:vgprValuB_X1_I0+0+0+0+1], v[vgprValuA_X1_I0+0+0+0:vgprValuA_X1_I0+0+0+0+1], a[0:15]
/* numPrefetchIter=0 */
/* dataAtIterA=0 numReadsIterA=2 skipReadsIterA=1 readsPerIterA=4 */
/* dataAtIterB=0 numReadsIterB=2 skipReadsIterB=1 readsPerIterB=4 */


/* iter 2 (reset local read pointers iteration)  (swap local read pointers iteration)  */

/*  grEndMfmaIndex:1, lwStartMfmaIndex:1, lwEndMfmaIndex:1  */
/*  numMfmaForLR:0, barrierMfmaIndex:3, LocalWritePerMfma:3.000 */
/*  mfmaIndex:2  */
_ds_load_u16 v[vgprValuA_X3_I0+0], v[vgprLocalReadAddrA] offset:1536 // L -> Reg lro=768 swapByteOffset=0 ti=32 vIdx=0 rIdx=0 oIdx=0 buffer=3 iui=0
_ds_load_u16_d16_hi v41, v[vgprLocalReadAddrA] offset:1600 // L -> Reg lro=768 swapByteOffset=0 ti=32 vIdx=0 rIdx=1 oIdx=0 buffer=3 iui=0
_ds_load_u16 v[vgprValuA_X3_I0+1], v[vgprLocalReadAddrA] offset:1664 // L -> Reg lro=768 swapByteOffset=0 ti=32 vIdx=0 rIdx=2 oIdx=0 buffer=3 iui=0
_ds_load_u16_d16_hi v42, v[vgprLocalReadAddrA] offset:1728 // L -> Reg lro=768 swapByteOffset=0 ti=32 vIdx=0 rIdx=3 oIdx=0 buffer=3 iui=0
_ds_load_u16 v[vgprValuB_X3_I0+0], v[vgprLocalReadAddrB] offset:6144 // L -> Reg lro=3072 swapByteOffset=0 ti=128 vIdx=0 rIdx=0 oIdx=0 buffer=3 iui=0
_ds_load_u16_d16_hi v43, v[vgprLocalReadAddrB] offset:6400 // L -> Reg lro=3072 swapByteOffset=0 ti=128 vIdx=0 rIdx=1 oIdx=0 buffer=3 iui=0
_ds_load_u16 v[vgprValuB_X3_I0+1], v[vgprLocalReadAddrB] offset:6656 // L -> Reg lro=3072 swapByteOffset=0 ti=128 vIdx=0 rIdx=2 oIdx=0 buffer=3 iui=0
_ds_load_u16_d16_hi v44, v[vgprLocalReadAddrB] offset:6912 // L -> Reg lro=3072 swapByteOffset=0 ti=128 vIdx=0 rIdx=3 oIdx=0 buffer=3 iui=0

/* local read swap offsets a */
v_xor_b32 v[vgprLocalReadAddrA], 0x4000, v[vgprLocalReadAddrA] // swap Red Blk

/* local read swap offsets b */
v_xor_b32 v[vgprLocalReadAddrB], 0x4000, v[vgprLocalReadAddrB] // swap Red Blk

/* local read init pointers a */

/* localReadInitPointers */

/* local read init pointers b */

/* localReadInitPointers */
s_waitcnt lgkmcnt(11)                              // lgkmcnt=0 vmcnt=-1wait for prior local read local write old=0, new=11 newLW=3 newLR=8
/* pack scheduling: packAIdx:2, packBIdx:2 */
v_or_b32 v[vgprValuA_X2_I0+0], v[vgprValuA_X2_I0+0], v37 // pack two half Vgpr to one Vgpr
v_or_b32 v[vgprValuA_X2_I0+1], v[vgprValuA_X2_I0+1], v38 // pack two half Vgpr to one Vgpr
v_or_b32 v[vgprValuB_X2_I0+0], v[vgprValuB_X2_I0+0], v39 // pack two half Vgpr to one Vgpr
v_or_b32 v[vgprValuB_X2_I0+1], v[vgprValuB_X2_I0+1], v40 // pack two half Vgpr to one Vgpr
s_nop  1                                           // VALU packing writes to be consumed by matrix instruction
v_mfma_f32_32x32x8bf16_1k a[0+0:15+0], v[vgprValuB_X2_I0+0+0+0:vgprValuB_X2_I0+0+0+0+1], v[vgprValuA_X2_I0+0+0+0:vgprValuA_X2_I0+0+0+0+1], a[0:15]
s_setprio 0                                        // store optimization
/* numPrefetchIter=0 */
/* dataAtIterA=1 numReadsIterA=3 skipReadsIterA=1 readsPerIterA=4 */
/* dataAtIterB=1 numReadsIterB=3 skipReadsIterB=1 readsPerIterB=4 */


/* iter 3 */

/*  grEndMfmaIndex:1, lwStartMfmaIndex:1, lwEndMfmaIndex:1  */
/*  numMfmaForLR:0, barrierMfmaIndex:3, LocalWritePerMfma:3.000 */
/*  mfmaIndex:3  */
s_waitcnt lgkmcnt(0)                               // lgkmcnt=0 vmcnt=-13wait for local write
// Skip force waitcnt0
s_barrier //
_ds_load_u16 v[vgprValuA_X0_I0+0], v[vgprLocalReadAddrA] offset:0 // L -> Reg lro=0 swapByteOffset=0 ti=32 vIdx=0 rIdx=0 oIdx=0 buffer=0 iui=0
_ds_load_u16_d16_hi v37, v[vgprLocalReadAddrA] offset:64 // L -> Reg lro=0 swapByteOffset=0 ti=32 vIdx=0 rIdx=1 oIdx=0 buffer=0 iui=0
_ds_load_u16 v[vgprValuA_X0_I0+1], v[vgprLocalReadAddrA] offset:128 // L -> Reg lro=0 swapByteOffset=0 ti=32 vIdx=0 rIdx=2 oIdx=0 buffer=0 iui=0
_ds_load_u16_d16_hi v38, v[vgprLocalReadAddrA] offset:192 // L -> Reg lro=0 swapByteOffset=0 ti=32 vIdx=0 rIdx=3 oIdx=0 buffer=0 iui=0
_ds_load_u16 v[vgprValuB_X0_I0+0], v[vgprLocalReadAddrB] offset:0 // L -> Reg lro=0 swapByteOffset=0 ti=128 vIdx=0 rIdx=0 oIdx=0 buffer=0 iui=0
_ds_load_u16_d16_hi v39, v[vgprLocalReadAddrB] offset:256 // L -> Reg lro=0 swapByteOffset=0 ti=128 vIdx=0 rIdx=1 oIdx=0 buffer=0 iui=0
_ds_load_u16 v[vgprValuB_X0_I0+1], v[vgprLocalReadAddrB] offset:512 // L -> Reg lro=0 swapByteOffset=0 ti=128 vIdx=0 rIdx=2 oIdx=0 buffer=0 iui=0
_ds_load_u16_d16_hi v40, v[vgprLocalReadAddrB] offset:768 // L -> Reg lro=0 swapByteOffset=0 ti=128 vIdx=0 rIdx=3 oIdx=0 buffer=0 iui=0
s_waitcnt lgkmcnt(8)                               // lgkmcnt=0 vmcnt=-1wait for prior local read local write old=0, new=8 newLW=0 newLR=8
/* pack scheduling: packAIdx:2, packBIdx:2 */
v_or_b32 v[vgprValuA_X3_I0+0], v[vgprValuA_X3_I0+0], v41 // pack two half Vgpr to one Vgpr
v_or_b32 v[vgprValuA_X3_I0+1], v[vgprValuA_X3_I0+1], v42 // pack two half Vgpr to one Vgpr
v_or_b32 v[vgprValuB_X3_I0+0], v[vgprValuB_X3_I0+0], v43 // pack two half Vgpr to one Vgpr
v_or_b32 v[vgprValuB_X3_I0+1], v[vgprValuB_X3_I0+1], v44 // pack two half Vgpr to one Vgpr
s_nop  1                                           // VALU packing writes to be consumed by matrix instruction
v_mfma_f32_32x32x8bf16_1k a[0+0:15+0], v[vgprValuB_X3_I0+0+0+0:vgprValuB_X3_I0+0+0+0+1], v[vgprValuA_X3_I0+0+0+0:vgprValuA_X3_I0+0+0+0+1], a[0:15]
s_setprio 0                                        // store optimization
/* numPrefetchIter=1 */
/* dataAtIterA=2 numReadsIterA=3 skipReadsIterA=1 readsPerIterA=4 */
/* dataAtIterB=2 numReadsIterB=3 skipReadsIterB=1 readsPerIterB=4 */

label_0014:


/******************************************/
/* Ord. NoLoadLoop - Begin                                      */
/******************************************/


	;; [unrolled: 1-line block ×4, first 2 shown]
/* iter 0 (last unrolled loop) */

/*  grEndMfmaIndex:0, lwStartMfmaIndex:1, lwEndMfmaIndex:1  */
/*  numMfmaForLR:0, barrierMfmaIndex:3, LocalWritePerMfma:3.000 */
/*  mfmaIndex:0  */
_ds_load_u16 v[vgprValuA_X1_I0+0], v[vgprLocalReadAddrA] offset:512 // L -> Reg lro=256 swapByteOffset=0 ti=32 vIdx=0 rIdx=0 oIdx=0 buffer=1 iui=0
_ds_load_u16_d16_hi v41, v[vgprLocalReadAddrA] offset:576 // L -> Reg lro=256 swapByteOffset=0 ti=32 vIdx=0 rIdx=1 oIdx=0 buffer=1 iui=0
_ds_load_u16 v[vgprValuA_X1_I0+1], v[vgprLocalReadAddrA] offset:640 // L -> Reg lro=256 swapByteOffset=0 ti=32 vIdx=0 rIdx=2 oIdx=0 buffer=1 iui=0
_ds_load_u16_d16_hi v42, v[vgprLocalReadAddrA] offset:704 // L -> Reg lro=256 swapByteOffset=0 ti=32 vIdx=0 rIdx=3 oIdx=0 buffer=1 iui=0
_ds_load_u16 v[vgprValuB_X1_I0+0], v[vgprLocalReadAddrB] offset:2048 // L -> Reg lro=1024 swapByteOffset=0 ti=128 vIdx=0 rIdx=0 oIdx=0 buffer=1 iui=0
_ds_load_u16_d16_hi v43, v[vgprLocalReadAddrB] offset:2304 // L -> Reg lro=1024 swapByteOffset=0 ti=128 vIdx=0 rIdx=1 oIdx=0 buffer=1 iui=0
_ds_load_u16 v[vgprValuB_X1_I0+1], v[vgprLocalReadAddrB] offset:2560 // L -> Reg lro=1024 swapByteOffset=0 ti=128 vIdx=0 rIdx=2 oIdx=0 buffer=1 iui=0
_ds_load_u16_d16_hi v44, v[vgprLocalReadAddrB] offset:2816 // L -> Reg lro=1024 swapByteOffset=0 ti=128 vIdx=0 rIdx=3 oIdx=0 buffer=1 iui=0
s_waitcnt lgkmcnt(8)                               // lgkmcnt=0 vmcnt=-1wait for prior local read local write old=0, new=8 newLW=0 newLR=8
/* pack scheduling: packAIdx:2, packBIdx:2 */
v_or_b32 v[vgprValuA_X0_I0+0], v[vgprValuA_X0_I0+0], v37 // pack two half Vgpr to one Vgpr
v_or_b32 v[vgprValuA_X0_I0+1], v[vgprValuA_X0_I0+1], v38 // pack two half Vgpr to one Vgpr
v_or_b32 v[vgprValuB_X0_I0+0], v[vgprValuB_X0_I0+0], v39 // pack two half Vgpr to one Vgpr
v_or_b32 v[vgprValuB_X0_I0+1], v[vgprValuB_X0_I0+1], v40 // pack two half Vgpr to one Vgpr
s_nop  1                                           // VALU packing writes to be consumed by matrix instruction
v_mfma_f32_32x32x8bf16_1k a[0+0:15+0], v[vgprValuB_X0_I0+0+0+0:vgprValuB_X0_I0+0+0+0+1], v[vgprValuA_X0_I0+0+0+0:vgprValuA_X0_I0+0+0+0+1], a[0:15]
/* numPrefetchIter=0 */
/* dataAtIterA=-1 numReadsIterA=1 skipReadsIterA=1 readsPerIterA=4 */
/* dataAtIterB=-1 numReadsIterB=1 skipReadsIterB=1 readsPerIterB=4 */


/* iter 1 (last unrolled loop) */

/*  grEndMfmaIndex:0, lwStartMfmaIndex:1, lwEndMfmaIndex:1  */
/*  numMfmaForLR:0, barrierMfmaIndex:3, LocalWritePerMfma:3.000 */
/*  mfmaIndex:1  */
_ds_load_u16 v[vgprValuA_X2_I0+0], v[vgprLocalReadAddrA] offset:1024 // L -> Reg lro=512 swapByteOffset=0 ti=32 vIdx=0 rIdx=0 oIdx=0 buffer=2 iui=0
_ds_load_u16_d16_hi v37, v[vgprLocalReadAddrA] offset:1088 // L -> Reg lro=512 swapByteOffset=0 ti=32 vIdx=0 rIdx=1 oIdx=0 buffer=2 iui=0
_ds_load_u16 v[vgprValuA_X2_I0+1], v[vgprLocalReadAddrA] offset:1152 // L -> Reg lro=512 swapByteOffset=0 ti=32 vIdx=0 rIdx=2 oIdx=0 buffer=2 iui=0
_ds_load_u16_d16_hi v38, v[vgprLocalReadAddrA] offset:1216 // L -> Reg lro=512 swapByteOffset=0 ti=32 vIdx=0 rIdx=3 oIdx=0 buffer=2 iui=0
_ds_load_u16 v[vgprValuB_X2_I0+0], v[vgprLocalReadAddrB] offset:4096 // L -> Reg lro=2048 swapByteOffset=0 ti=128 vIdx=0 rIdx=0 oIdx=0 buffer=2 iui=0
_ds_load_u16_d16_hi v39, v[vgprLocalReadAddrB] offset:4352 // L -> Reg lro=2048 swapByteOffset=0 ti=128 vIdx=0 rIdx=1 oIdx=0 buffer=2 iui=0
_ds_load_u16 v[vgprValuB_X2_I0+1], v[vgprLocalReadAddrB] offset:4608 // L -> Reg lro=2048 swapByteOffset=0 ti=128 vIdx=0 rIdx=2 oIdx=0 buffer=2 iui=0
_ds_load_u16_d16_hi v40, v[vgprLocalReadAddrB] offset:4864 // L -> Reg lro=2048 swapByteOffset=0 ti=128 vIdx=0 rIdx=3 oIdx=0 buffer=2 iui=0
s_setprio 3                                        // store optimization
s_waitcnt lgkmcnt(8)                               // lgkmcnt=0 vmcnt=-1wait for prior local read local write old=0, new=8 newLW=0 newLR=8
/* pack scheduling: packAIdx:2, packBIdx:2 */
v_or_b32 v[vgprValuA_X1_I0+0], v[vgprValuA_X1_I0+0], v41 // pack two half Vgpr to one Vgpr
v_or_b32 v[vgprValuA_X1_I0+1], v[vgprValuA_X1_I0+1], v42 // pack two half Vgpr to one Vgpr
v_or_b32 v[vgprValuB_X1_I0+0], v[vgprValuB_X1_I0+0], v43 // pack two half Vgpr to one Vgpr
v_or_b32 v[vgprValuB_X1_I0+1], v[vgprValuB_X1_I0+1], v44 // pack two half Vgpr to one Vgpr
s_nop  1                                           // VALU packing writes to be consumed by matrix instruction
v_mfma_f32_32x32x8bf16_1k a[0+0:15+0], v[vgprValuB_X1_I0+0+0+0:vgprValuB_X1_I0+0+0+0+1], v[vgprValuA_X1_I0+0+0+0:vgprValuA_X1_I0+0+0+0+1], a[0:15]
/* numPrefetchIter=0 */
/* dataAtIterA=0 numReadsIterA=2 skipReadsIterA=1 readsPerIterA=4 */
/* dataAtIterB=0 numReadsIterB=2 skipReadsIterB=1 readsPerIterB=4 */


/* iter 2 (last unrolled loop) */

/*  grEndMfmaIndex:0, lwStartMfmaIndex:1, lwEndMfmaIndex:1  */
/*  numMfmaForLR:0, barrierMfmaIndex:3, LocalWritePerMfma:3.000 */
/*  mfmaIndex:2  */
_ds_load_u16 v[vgprValuA_X3_I0+0], v[vgprLocalReadAddrA] offset:1536 // L -> Reg lro=768 swapByteOffset=0 ti=32 vIdx=0 rIdx=0 oIdx=0 buffer=3 iui=0
_ds_load_u16_d16_hi v41, v[vgprLocalReadAddrA] offset:1600 // L -> Reg lro=768 swapByteOffset=0 ti=32 vIdx=0 rIdx=1 oIdx=0 buffer=3 iui=0
_ds_load_u16 v[vgprValuA_X3_I0+1], v[vgprLocalReadAddrA] offset:1664 // L -> Reg lro=768 swapByteOffset=0 ti=32 vIdx=0 rIdx=2 oIdx=0 buffer=3 iui=0
_ds_load_u16_d16_hi v42, v[vgprLocalReadAddrA] offset:1728 // L -> Reg lro=768 swapByteOffset=0 ti=32 vIdx=0 rIdx=3 oIdx=0 buffer=3 iui=0
_ds_load_u16 v[vgprValuB_X3_I0+0], v[vgprLocalReadAddrB] offset:6144 // L -> Reg lro=3072 swapByteOffset=0 ti=128 vIdx=0 rIdx=0 oIdx=0 buffer=3 iui=0
_ds_load_u16_d16_hi v43, v[vgprLocalReadAddrB] offset:6400 // L -> Reg lro=3072 swapByteOffset=0 ti=128 vIdx=0 rIdx=1 oIdx=0 buffer=3 iui=0
_ds_load_u16 v[vgprValuB_X3_I0+1], v[vgprLocalReadAddrB] offset:6656 // L -> Reg lro=3072 swapByteOffset=0 ti=128 vIdx=0 rIdx=2 oIdx=0 buffer=3 iui=0
_ds_load_u16_d16_hi v44, v[vgprLocalReadAddrB] offset:6912 // L -> Reg lro=3072 swapByteOffset=0 ti=128 vIdx=0 rIdx=3 oIdx=0 buffer=3 iui=0
s_waitcnt lgkmcnt(8)                               // lgkmcnt=0 vmcnt=-1wait for prior local read local write old=0, new=8 newLW=0 newLR=8
/* pack scheduling: packAIdx:2, packBIdx:2 */
v_or_b32 v[vgprValuA_X2_I0+0], v[vgprValuA_X2_I0+0], v37 // pack two half Vgpr to one Vgpr
v_or_b32 v[vgprValuA_X2_I0+1], v[vgprValuA_X2_I0+1], v38 // pack two half Vgpr to one Vgpr
v_or_b32 v[vgprValuB_X2_I0+0], v[vgprValuB_X2_I0+0], v39 // pack two half Vgpr to one Vgpr
v_or_b32 v[vgprValuB_X2_I0+1], v[vgprValuB_X2_I0+1], v40 // pack two half Vgpr to one Vgpr
s_nop  1                                           // VALU packing writes to be consumed by matrix instruction
v_mfma_f32_32x32x8bf16_1k a[0+0:15+0], v[vgprValuB_X2_I0+0+0+0:vgprValuB_X2_I0+0+0+0+1], v[vgprValuA_X2_I0+0+0+0:vgprValuA_X2_I0+0+0+0+1], a[0:15]
s_setprio 0                                        // store optimization
/* numPrefetchIter=0 */
/* dataAtIterA=1 numReadsIterA=3 skipReadsIterA=1 readsPerIterA=4 */
/* dataAtIterB=1 numReadsIterB=3 skipReadsIterB=1 readsPerIterB=4 */


/* iter 3 (last unrolled loop) */

/*  grEndMfmaIndex:0, lwStartMfmaIndex:1, lwEndMfmaIndex:1  */
/*  numMfmaForLR:0, barrierMfmaIndex:3, LocalWritePerMfma:3.000 */
/*  mfmaIndex:3  */
s_waitcnt lgkmcnt(0)                               // lgkmcnt=0 vmcnt=-1wait for prior local read local write old=0, new=0 newLW=0 newLR=0
/* pack scheduling: packAIdx:2, packBIdx:2 */
v_or_b32 v[vgprValuA_X3_I0+0], v[vgprValuA_X3_I0+0], v41 // pack two half Vgpr to one Vgpr
v_or_b32 v[vgprValuA_X3_I0+1], v[vgprValuA_X3_I0+1], v42 // pack two half Vgpr to one Vgpr
v_or_b32 v[vgprValuB_X3_I0+0], v[vgprValuB_X3_I0+0], v43 // pack two half Vgpr to one Vgpr
v_or_b32 v[vgprValuB_X3_I0+1], v[vgprValuB_X3_I0+1], v44 // pack two half Vgpr to one Vgpr
s_nop  1                                           // VALU packing writes to be consumed by matrix instruction
v_mfma_f32_32x32x8bf16_1k a[0+0:15+0], v[vgprValuB_X3_I0+0+0+0:vgprValuB_X3_I0+0+0+0+1], v[vgprValuA_X3_I0+0+0+0:vgprValuA_X3_I0+0+0+0+1], a[0:15]
/* numPrefetchIter=0 */
/* dataAtIterA=2 numReadsIterA=3 skipReadsIterA=0 readsPerIterA=4 */
/* dataAtIterB=2 numReadsIterB=3 skipReadsIterB=0 readsPerIterB=4 */

PrefetchGlobalLastIterEnd_5:


/******************************************/
/* Tail Loop                              */
/******************************************/


/* local write reset offsets a */

v_and_b32 v[vgprLocalWriteAddrA], 0xf03fff, v[vgprLocalWriteAddrA] // reset to Red


/* local write reset offsets b */

v_and_b32 v[vgprLocalWriteAddrB], 0xf03fff, v[vgprLocalWriteAddrB] // reset to Red


//numIterL = (((sizeL % LOCAL_DEPTHU) + LOCAL_SPLITU - 1) / LOCAL_SPLITU)
s_and_b32 s[sgprLoopCounterL], 31, s[sgprSizesSum+0] // s[sgprLoopCounterL] = s[sgprSizesSum+0] % 32
s_cmp_lg_u32 s[sgprGSUSumIdx], s[sgprGSUSumIdx+1]  // gsuSumIdx == numIterPerWgRemainder
s_cmov_b32 s[sgprLoopCounterL], 0x0                // numIter=0 if gsuSumIdx!=remainder
s_cmp_eq_u32 s[sgprLoopCounterL], 0x0              // numIterL == 0
s_cbranch_scc1 SkipTailLoopL_8                     // skip to end of tail loop b/c numIter==0
s_mov_b32 s[sgprOrigLoopCounter], 0                // repurpose to count each localRead increment


/* Update M0 for DTLDS */


	;; [unrolled: 1-line block ×3, first 2 shown]
/* global read a */

/* g2l=0, load component 0 */
_buffer_load_d16_b16 v[vgprG2LA+0+0], v[vgprGlobalReadOffsetA+0], s[sgprSrdA:sgprSrdA+3], 0, offen offset:0 // load one buffer value
/* g2l=0, load component 1 */
_buffer_load_d16_hi_b16 v37, v[vgprGlobalReadOffsetA+0], s[sgprSrdA:sgprSrdA+3], 0, offen offset:2 // load one buffer value
s_waitcnt vmcnt(0)
v_or_b32 v[vgprG2LA+0+0], v[vgprG2LA+0+0], v37 // HasEccHalf: pack
/* g2l=0, load component 2 */
_buffer_load_d16_b16 v[vgprG2LA+0+1], v[vgprGlobalReadOffsetA+0], s[sgprSrdA:sgprSrdA+3], 0, offen offset:4 // load one buffer value
/* g2l=0, load component 3 */
_buffer_load_d16_hi_b16 v37, v[vgprGlobalReadOffsetA+0], s[sgprSrdA:sgprSrdA+3], 0, offen offset:6 // load one buffer value
s_waitcnt vmcnt(0)
v_or_b32 v[vgprG2LA+0+1], v[vgprG2LA+0+1], v37 // HasEccHalf: pack


/* Update M0 for DTLDS */


	;; [unrolled: 1-line block ×3, first 2 shown]
/* global read b */

/* g2l=0, load component 0 */
_buffer_load_d16_b16 v[vgprG2LB+0+0], v[vgprGlobalReadOffsetB+0], s[sgprSrdB:sgprSrdB+3], 0, offen offset:0 // load one buffer value
/* g2l=0, load component 1 */
_buffer_load_d16_hi_b16 v37, v[vgprGlobalReadOffsetB+0], s[sgprSrdB:sgprSrdB+3], 0, offen offset:2 // load one buffer value
s_waitcnt vmcnt(0)
v_or_b32 v[vgprG2LB+0+0], v[vgprG2LB+0+0], v37 // HasEccHalf: pack
/* g2l=0, load component 2 */
_buffer_load_d16_b16 v[vgprG2LB+0+1], v[vgprGlobalReadOffsetB+0], s[sgprSrdB:sgprSrdB+3], 0, offen offset:4 // load one buffer value
/* g2l=0, load component 3 */
_buffer_load_d16_hi_b16 v37, v[vgprGlobalReadOffsetB+0], s[sgprSrdB:sgprSrdB+3], 0, offen offset:6 // load one buffer value
s_waitcnt vmcnt(0)
v_or_b32 v[vgprG2LB+0+1], v[vgprG2LB+0+1], v37 // HasEccHalf: pack
	;; [unrolled: 6-line block ×8, first 2 shown]

s_waitcnt vmcnt(0)                                 // lgkmcnt=-1 vmcnt=02wait for global read

// Skip force waitcnt0
s_barrier //


/* Done global A/B reads */




/* local write a */

v_cvt_f32_f16 v[vgprG2Lpipe0], v[vgprG2LA+0]       // 
v_cvt_f32_f16 v[vgprG2Lpipe1], v[vgprG2LA+0], src0_sel:WORD_1 // 
v_pack_b32_f16 v[vgprG2LA+0], v[vgprG2Lpipe0], v[vgprG2Lpipe1], op_sel:[1,1,0] // 
v_cvt_f32_f16 v[vgprG2Lpipe0], v[vgprG2LA+1]       // 
v_cvt_f32_f16 v[vgprG2Lpipe1], v[vgprG2LA+1], src0_sel:WORD_1 // 
v_pack_b32_f16 v[vgprG2LA+1], v[vgprG2Lpipe0], v[vgprG2Lpipe1], op_sel:[1,1,0] // 
_ds_store_b64 v[vgprLocalWriteAddrA], v[vgprG2LA+0:vgprG2LA+0+1] offset:0 // lwoA_0_0_0_0 = (0*LSCA) + (0*LSPA)(*MT0I+PAD) = 0


/* local write b */

v_cvt_f32_f16 v[vgprG2Lpipe0], v[vgprG2LB+0]       // 
v_cvt_f32_f16 v[vgprG2Lpipe1], v[vgprG2LB+0], src0_sel:WORD_1 // 
v_pack_b32_f16 v[vgprG2LB+0], v[vgprG2Lpipe0], v[vgprG2Lpipe1], op_sel:[1,1,0] // 
v_cvt_f32_f16 v[vgprG2Lpipe0], v[vgprG2LB+1]       // 
v_cvt_f32_f16 v[vgprG2Lpipe1], v[vgprG2LB+1], src0_sel:WORD_1 // 
v_pack_b32_f16 v[vgprG2LB+1], v[vgprG2Lpipe0], v[vgprG2Lpipe1], op_sel:[1,1,0] // 
	;; [unrolled: 3-line block ×4, first 2 shown]
_ds_store_b128 v[vgprLocalWriteAddrB], v[vgprG2LB+0:vgprG2LB+0+3] offset:0 // lwoB_0_0_0_0 = (0*LSCB) + (0*LSPB)(*MT1J+PAD) = 0
v_cvt_f32_f16 v[vgprG2Lpipe0], v[vgprG2LB+4]       // 
v_cvt_f32_f16 v[vgprG2Lpipe1], v[vgprG2LB+4], src0_sel:WORD_1 // 
v_pack_b32_f16 v[vgprG2LB+4], v[vgprG2Lpipe0], v[vgprG2Lpipe1], op_sel:[1,1,0] // 
v_cvt_f32_f16 v[vgprG2Lpipe0], v[vgprG2LB+5]       // 
v_cvt_f32_f16 v[vgprG2Lpipe1], v[vgprG2LB+5], src0_sel:WORD_1 // 
v_pack_b32_f16 v[vgprG2LB+5], v[vgprG2Lpipe0], v[vgprG2Lpipe1], op_sel:[1,1,0] // 
	;; [unrolled: 3-line block ×4, first 2 shown]
_ds_store_b128 v[vgprLocalWriteAddrB], v[vgprG2LB+4:vgprG2LB+4+3] offset:4096 // lwoB_0_0_1_0 = (0*LSCB) + (1*LSPB)(*MT1J+PAD) = 4096


/* Recalc local read offsets */


s_waitcnt lgkmcnt(0)                               // lgkmcnt=0 vmcnt=-15wait for local write

// Skip force waitcnt0
s_barrier //


/* local read reset offsets a */


/* localReadResetOffsets */
/* handled internally */
v_and_b32 v[vgprLocalReadAddrA], 0x3fff, v[vgprLocalReadAddrA] // reset Red,Blk -> Red


/* local read reset offsets b */


/* localReadResetOffsets */
/* handled internally */
v_and_b32 v[vgprLocalReadAddrB], 0x3fff, v[vgprLocalReadAddrB] // reset Red,Blk -> Red


/* local read init pointers a */


/* localReadInitPointers */


/* local read init pointers b */


/* localReadInitPointers */


/* tail loop: macs */

TailLoopBeginL_6:


/* local read a */

_ds_load_u16 v[vgprValuA_X0_I0+0], v[vgprLocalReadAddrA] offset:0 // L -> Reg lro=0 swapByteOffset=0 ti=32 vIdx=0 rIdx=0 oIdx=0 buffer=0 iui=0
_ds_load_u16_d16_hi v37, v[vgprLocalReadAddrA] offset:64 // L -> Reg lro=0 swapByteOffset=0 ti=32 vIdx=0 rIdx=1 oIdx=0 buffer=0 iui=0
_ds_load_u16 v[vgprValuA_X0_I0+1], v[vgprLocalReadAddrA] offset:128 // L -> Reg lro=0 swapByteOffset=0 ti=32 vIdx=0 rIdx=2 oIdx=0 buffer=0 iui=0
_ds_load_u16_d16_hi v38, v[vgprLocalReadAddrA] offset:192 // L -> Reg lro=0 swapByteOffset=0 ti=32 vIdx=0 rIdx=3 oIdx=0 buffer=0 iui=0


/* local read b */

_ds_load_u16 v[vgprValuB_X0_I0+0], v[vgprLocalReadAddrB] offset:0 // L -> Reg lro=0 swapByteOffset=0 ti=128 vIdx=0 rIdx=0 oIdx=0 buffer=0 iui=0
_ds_load_u16_d16_hi v39, v[vgprLocalReadAddrB] offset:256 // L -> Reg lro=0 swapByteOffset=0 ti=128 vIdx=0 rIdx=1 oIdx=0 buffer=0 iui=0
_ds_load_u16 v[vgprValuB_X0_I0+1], v[vgprLocalReadAddrB] offset:512 // L -> Reg lro=0 swapByteOffset=0 ti=128 vIdx=0 rIdx=2 oIdx=0 buffer=0 iui=0
_ds_load_u16_d16_hi v40, v[vgprLocalReadAddrB] offset:768 // L -> Reg lro=0 swapByteOffset=0 ti=128 vIdx=0 rIdx=3 oIdx=0 buffer=0 iui=0


/* local read inc a */

s_mov_b32 s10, 0x200                               // inc
_v_add_co_u32 v[vgprLocalReadAddrA], vcc, s10, v[vgprLocalReadAddrA] // lrA += 512 (LSU*(MT+PAD)*bpe)


/* local read inc b */

s_mov_b32 s10, 0x800                               // inc
_v_add_co_u32 v[vgprLocalReadAddrB], vcc, s10, v[vgprLocalReadAddrB] // lrB += 2048 (LSU*(MT+PAD)*bpe)

s_waitcnt lgkmcnt(0)                               // lgkmcnt=0 vmcnt=-14wait for local read

v_or_b32 v[vgprValuA_X0_I0+0], v[vgprValuA_X0_I0+0], v37 // pack two half Vgpr to one Vgpr
v_or_b32 v[vgprValuA_X0_I0+1], v[vgprValuA_X0_I0+1], v38 // pack two half Vgpr to one Vgpr
v_or_b32 v[vgprValuB_X0_I0+0], v[vgprValuB_X0_I0+0], v39 // pack two half Vgpr to one Vgpr
v_or_b32 v[vgprValuB_X0_I0+1], v[vgprValuB_X0_I0+1], v40 // pack two half Vgpr to one Vgpr

s_nop 1
v_mfma_f32_32x32x8bf16_1k a[0+0:15+0], v[vgprValuB_X0_I0+0+0+0:vgprValuB_X0_I0+0+0+0+1], v[vgprValuA_X0_I0+0+0+0:vgprValuA_X0_I0+0+0+0+1], a[0:15]


/* closeLoop loopL finalLoop=1 tailLoop=1 */
s_sub_i32 s[sgprLoopCounterL], s[sgprLoopCounterL], 0x8 // dec counterL (tailLoop)
s_add_u32 s[sgprOrigLoopCounter], s[sgprOrigLoopCounter], 0x8 // inc counterL
s_cmp_le_i32 s[sgprLoopCounterL], 0x0              // counterL<=0
s_cbranch_scc0 TailLoopBeginL_6                    // restart LoopL
TailLoopEndL_7:

SkipTailLoopL_8:

Summation_End_18:
s_setprio 0                                        // optimization store
/* endSummation: add vgpr [0...32) to pool */
.set NumFullBlocks, UNDEF
.set WgmRemainder1, UNDEF
.set MagicNumberWgmRemainder1, UNDEF

/* Mapping of Acc register -> C Vgpr register */


/* shift vector components d0 */

v_mov_b32 v1, s[sgprWorkGroup0]                    // 
v_mul_i32_i24 v1, -0x20, v1                        // wg*MT
_v_add_co_u32 v1, vcc, s[sgprSizesFree+0], v1      // wgMT = Size - wg*MT
v_mov_b32 v2, 0x20                                 // MT
v_min_u32 v1, v2, v1                               // wgMT = (wgMT < MT) ? wgMT : MT
v_lshrrev_b32 v0, 6, v[vgprSerial]                 // v0 = v[vgprSerial] / 64
v_and_b32 v3, 0, v0                                // v3 = v0 % 1
v_lshrrev_b32 v0, 5, v1                            // v0 = v1 / 32
v_and_b32 v4, 0, v0                                // v4 = v0 % 1
v_cmp_eq_u32 s[10:11], v4, v3                      // wave_id == block_belong_to_wave?
v_cndmask_b32 v1, v2, v1, s[10:11]                 // wgMT = (wgMT < MT) ? wgMT : MT

/* mbReg: which mb block need to shift, mb(matrixInstCoal(32) * VectorWidth(1)) */
v_lshrrev_b32 v2, 5, v1                            // v2 = v1 / 32
v_lshlrev_b32 v4, 0x0, v3                          // v4 = v3 * 1
_v_sub_u32 v2, v2, v4                              // 

/* gbReg: glvw block id */
v_lshrrev_b32 v4, 2, v1                            // v4 = v1 / 4

/* tgbReg: glvw block id */
v_lshrrev_b32 v0, 0, v[vgprSerial]                 // v0 = v[vgprSerial] / 1
v_and_b32 v5, 31, v0                               // v5 = v0 % 32
                                                   // v5 = v5 * 1 (multiplier is 1, do nothing)
v_lshrrev_b32 v5, 2, v5                            // v5 = v5 / 4
v_lshlrev_b32 v3, 0x3, v3                          // v3 = v3 * 8
_v_add_co_u32 v5, vcc, v3, v5                      // tgbReg = (tid_coal * continOut) / GLVW
_v_sub_u32 v4, v4, v5                              // 

/* vwReg: glvw in which vw block? */
v_and_b32 v3, 0, v1                                // permute register between threads
v_lshrrev_b32 v3, 2, v3                            // permute register between threads

/* rReg : reminder of M_size % GlobalLoadVectorWidth */
v_and_b32 v5, 3, v1                                // v5 = v1 % 4
v_cmp_eq_u32 vcc, v5, 0x1                          // wgMT%VW == 1
s_cbranch_vccnz label_0019                         // branch to shift d0 r=1
v_cmp_eq_u32 vcc, v5, 0x2                          // wgMT%VW == 2
s_cbranch_vccnz label_0022                         // branch to shift d0 r=2
v_cmp_eq_u32 vcc, v5, 0x3                          // wgMT%VW == 3
s_cbranch_vccnz label_0025                         // branch to shift d0 r=3
s_branch label_0028                                // no shifting

/******************************************/
/* shift d0 r=1                           */
/******************************************/
label_0019:
v_cmp_eq_u32 vcc, v2, 0x0                          // 
s_cbranch_vccnz label_0020                         // branch to shift d0 r1 mb0

/******************************************/
/* shift d0 r=2                           */
/******************************************/
label_0022:
v_cmp_eq_u32 vcc, v2, 0x0                          // 
s_cbranch_vccnz label_0023                         // branch to shift d0 r2 mb0

/******************************************/
/* shift d0 r=3                           */
/******************************************/
label_0025:
v_cmp_eq_u32 vcc, v2, 0x0                          // 
s_cbranch_vccnz label_0026                         // branch to shift d0 r3 mb0

/******************************************/
/* shift d0 r=1 mb=0                      */
/******************************************/
label_0020: // r1 mb0 
v_cmp_eq_u32 vcc, v3, 0x0                          // 
s_cbranch_vccnz label_0021                         // branch to shift d0 r1 mb0 vw0

/******************************************/
/* shift d0 r=2 mb=0                      */
/******************************************/
label_0023: // r2 mb0 
v_cmp_eq_u32 vcc, v3, 0x0                          // 
s_cbranch_vccnz label_0024                         // branch to shift d0 r2 mb0 vw0

/******************************************/
/* shift d0 r=3 mb=0                      */
/******************************************/
label_0026: // r3 mb0 
v_cmp_eq_u32 vcc, v3, 0x0                          // 
s_cbranch_vccnz label_0027                         // branch to shift d0 r3 mb0 vw0

/******************************************/
/* shift d0 r=1 mb=0 vw0                  */
/******************************************/
label_0021: // r1 mb0 vw0 
s_mov_b32 s10, 0                                   // 
_v_cmpx_eq_u32 s[10:11], v4, s10                   // is thread in edge glvw region
v_and_b32 v0, 63, v[vgprSerial]                    // permute register between threads
v_lshlrev_b32 v0, 2, v0                            // permute register between threads
v_accvgpr_read_b32 v5, acc0                        // glvw 1 mb 0 tt1 0 r 0
s_nop 1                                            // v_accvgpr read vgpr after write vgpr: 2 wait states
ds_bpermute_b32 v5, v0, v5, offset:12              // permute edge values
s_waitcnt 0                                        // wait for swizzle operation
v_accvgpr_write_b32 acc0, v5                       // 
v_accvgpr_read_b32 v5, acc1                        // glvw 1 mb 0 tt1 1 r 0
s_nop 1                                            // v_accvgpr read vgpr after write vgpr: 2 wait states
ds_bpermute_b32 v5, v0, v5, offset:12              // permute edge values
s_waitcnt 0                                        // wait for swizzle operation
v_accvgpr_write_b32 acc1, v5                       // 
v_accvgpr_read_b32 v5, acc2                        // glvw 1 mb 0 tt1 2 r 0
s_nop 1                                            // v_accvgpr read vgpr after write vgpr: 2 wait states
ds_bpermute_b32 v5, v0, v5, offset:12              // permute edge values
s_waitcnt 0                                        // wait for swizzle operation
v_accvgpr_write_b32 acc2, v5                       // 
v_accvgpr_read_b32 v5, acc3                        // glvw 1 mb 0 tt1 3 r 0
s_nop 1                                            // v_accvgpr read vgpr after write vgpr: 2 wait states
ds_bpermute_b32 v5, v0, v5, offset:12              // permute edge values
s_waitcnt 0                                        // wait for swizzle operation
v_accvgpr_write_b32 acc3, v5                       // 
v_accvgpr_read_b32 v5, acc4                        // glvw 1 mb 0 tt1 4 r 0
s_nop 1                                            // v_accvgpr read vgpr after write vgpr: 2 wait states
ds_bpermute_b32 v5, v0, v5, offset:12              // permute edge values
s_waitcnt 0                                        // wait for swizzle operation
v_accvgpr_write_b32 acc4, v5                       // 
v_accvgpr_read_b32 v5, acc5                        // glvw 1 mb 0 tt1 5 r 0
s_nop 1                                            // v_accvgpr read vgpr after write vgpr: 2 wait states
ds_bpermute_b32 v5, v0, v5, offset:12              // permute edge values
s_waitcnt 0                                        // wait for swizzle operation
v_accvgpr_write_b32 acc5, v5                       // 
v_accvgpr_read_b32 v5, acc6                        // glvw 1 mb 0 tt1 6 r 0
s_nop 1                                            // v_accvgpr read vgpr after write vgpr: 2 wait states
ds_bpermute_b32 v5, v0, v5, offset:12              // permute edge values
s_waitcnt 0                                        // wait for swizzle operation
v_accvgpr_write_b32 acc6, v5                       // 
v_accvgpr_read_b32 v5, acc7                        // glvw 1 mb 0 tt1 7 r 0
s_nop 1                                            // v_accvgpr read vgpr after write vgpr: 2 wait states
ds_bpermute_b32 v5, v0, v5, offset:12              // permute edge values
s_waitcnt 0                                        // wait for swizzle operation
v_accvgpr_write_b32 acc7, v5                       // 
v_accvgpr_read_b32 v5, acc8                        // glvw 1 mb 0 tt1 8 r 0
s_nop 1                                            // v_accvgpr read vgpr after write vgpr: 2 wait states
ds_bpermute_b32 v5, v0, v5, offset:12              // permute edge values
s_waitcnt 0                                        // wait for swizzle operation
v_accvgpr_write_b32 acc8, v5                       // 
v_accvgpr_read_b32 v5, acc9                        // glvw 1 mb 0 tt1 9 r 0
s_nop 1                                            // v_accvgpr read vgpr after write vgpr: 2 wait states
ds_bpermute_b32 v5, v0, v5, offset:12              // permute edge values
s_waitcnt 0                                        // wait for swizzle operation
v_accvgpr_write_b32 acc9, v5                       // 
v_accvgpr_read_b32 v5, acc10                       // glvw 1 mb 0 tt1 10 r 0
s_nop 1                                            // v_accvgpr read vgpr after write vgpr: 2 wait states
ds_bpermute_b32 v5, v0, v5, offset:12              // permute edge values
s_waitcnt 0                                        // wait for swizzle operation
v_accvgpr_write_b32 acc10, v5                      // 
v_accvgpr_read_b32 v5, acc11                       // glvw 1 mb 0 tt1 11 r 0
s_nop 1                                            // v_accvgpr read vgpr after write vgpr: 2 wait states
ds_bpermute_b32 v5, v0, v5, offset:12              // permute edge values
s_waitcnt 0                                        // wait for swizzle operation
v_accvgpr_write_b32 acc11, v5                      // 
v_accvgpr_read_b32 v5, acc12                       // glvw 1 mb 0 tt1 12 r 0
s_nop 1                                            // v_accvgpr read vgpr after write vgpr: 2 wait states
ds_bpermute_b32 v5, v0, v5, offset:12              // permute edge values
s_waitcnt 0                                        // wait for swizzle operation
v_accvgpr_write_b32 acc12, v5                      // 
v_accvgpr_read_b32 v5, acc13                       // glvw 1 mb 0 tt1 13 r 0
s_nop 1                                            // v_accvgpr read vgpr after write vgpr: 2 wait states
ds_bpermute_b32 v5, v0, v5, offset:12              // permute edge values
s_waitcnt 0                                        // wait for swizzle operation
v_accvgpr_write_b32 acc13, v5                      // 
v_accvgpr_read_b32 v5, acc14                       // glvw 1 mb 0 tt1 14 r 0
s_nop 1                                            // v_accvgpr read vgpr after write vgpr: 2 wait states
ds_bpermute_b32 v5, v0, v5, offset:12              // permute edge values
s_waitcnt 0                                        // wait for swizzle operation
v_accvgpr_write_b32 acc14, v5                      // 
v_accvgpr_read_b32 v5, acc15                       // glvw 1 mb 0 tt1 15 r 0
s_nop 1                                            // v_accvgpr read vgpr after write vgpr: 2 wait states
ds_bpermute_b32 v5, v0, v5, offset:12              // permute edge values
s_waitcnt 0                                        // wait for swizzle operation
v_accvgpr_write_b32 acc15, v5                      // 
s_mov_b64 s[10:11], 0xFFFFFFFFFFFFFFFF             // to restore all threads active
s_or_saveexec_b64 vcc, s[10:11]                    // all threads active
s_branch label_0028                                // done shifting


/******************************************/
/* shift d0 r=2 mb=0 vw0                  */
/******************************************/
label_0024: // r2 mb0 vw0 
s_mov_b32 s10, 0                                   // 
_v_cmpx_eq_u32 s[10:11], v4, s10                   // is thread in edge glvw region
v_and_b32 v0, 63, v[vgprSerial]                    // permute register between threads
v_lshlrev_b32 v0, 2, v0                            // permute register between threads
v_accvgpr_read_b32 v5, acc0                        // glvw 2 mb 0 tt1 0 r 0
s_nop 1                                            // v_accvgpr read vgpr after write vgpr: 2 wait states
ds_bpermute_b32 v5, v0, v5, offset:8               // permute edge values
s_waitcnt 0                                        // wait for swizzle operation
v_accvgpr_write_b32 acc0, v5                       // 
v_accvgpr_read_b32 v5, acc1                        // glvw 2 mb 0 tt1 1 r 0
s_nop 1                                            // v_accvgpr read vgpr after write vgpr: 2 wait states
ds_bpermute_b32 v5, v0, v5, offset:8               // permute edge values
s_waitcnt 0                                        // wait for swizzle operation
v_accvgpr_write_b32 acc1, v5                       // 
v_accvgpr_read_b32 v5, acc2                        // glvw 2 mb 0 tt1 2 r 0
s_nop 1                                            // v_accvgpr read vgpr after write vgpr: 2 wait states
ds_bpermute_b32 v5, v0, v5, offset:8               // permute edge values
s_waitcnt 0                                        // wait for swizzle operation
v_accvgpr_write_b32 acc2, v5                       // 
v_accvgpr_read_b32 v5, acc3                        // glvw 2 mb 0 tt1 3 r 0
s_nop 1                                            // v_accvgpr read vgpr after write vgpr: 2 wait states
ds_bpermute_b32 v5, v0, v5, offset:8               // permute edge values
s_waitcnt 0                                        // wait for swizzle operation
v_accvgpr_write_b32 acc3, v5                       // 
v_accvgpr_read_b32 v5, acc4                        // glvw 2 mb 0 tt1 4 r 0
s_nop 1                                            // v_accvgpr read vgpr after write vgpr: 2 wait states
ds_bpermute_b32 v5, v0, v5, offset:8               // permute edge values
s_waitcnt 0                                        // wait for swizzle operation
v_accvgpr_write_b32 acc4, v5                       // 
v_accvgpr_read_b32 v5, acc5                        // glvw 2 mb 0 tt1 5 r 0
s_nop 1                                            // v_accvgpr read vgpr after write vgpr: 2 wait states
ds_bpermute_b32 v5, v0, v5, offset:8               // permute edge values
s_waitcnt 0                                        // wait for swizzle operation
v_accvgpr_write_b32 acc5, v5                       // 
v_accvgpr_read_b32 v5, acc6                        // glvw 2 mb 0 tt1 6 r 0
s_nop 1                                            // v_accvgpr read vgpr after write vgpr: 2 wait states
ds_bpermute_b32 v5, v0, v5, offset:8               // permute edge values
s_waitcnt 0                                        // wait for swizzle operation
v_accvgpr_write_b32 acc6, v5                       // 
v_accvgpr_read_b32 v5, acc7                        // glvw 2 mb 0 tt1 7 r 0
s_nop 1                                            // v_accvgpr read vgpr after write vgpr: 2 wait states
ds_bpermute_b32 v5, v0, v5, offset:8               // permute edge values
s_waitcnt 0                                        // wait for swizzle operation
v_accvgpr_write_b32 acc7, v5                       // 
v_accvgpr_read_b32 v5, acc8                        // glvw 2 mb 0 tt1 8 r 0
s_nop 1                                            // v_accvgpr read vgpr after write vgpr: 2 wait states
ds_bpermute_b32 v5, v0, v5, offset:8               // permute edge values
s_waitcnt 0                                        // wait for swizzle operation
v_accvgpr_write_b32 acc8, v5                       // 
v_accvgpr_read_b32 v5, acc9                        // glvw 2 mb 0 tt1 9 r 0
s_nop 1                                            // v_accvgpr read vgpr after write vgpr: 2 wait states
ds_bpermute_b32 v5, v0, v5, offset:8               // permute edge values
s_waitcnt 0                                        // wait for swizzle operation
v_accvgpr_write_b32 acc9, v5                       // 
v_accvgpr_read_b32 v5, acc10                       // glvw 2 mb 0 tt1 10 r 0
s_nop 1                                            // v_accvgpr read vgpr after write vgpr: 2 wait states
ds_bpermute_b32 v5, v0, v5, offset:8               // permute edge values
s_waitcnt 0                                        // wait for swizzle operation
v_accvgpr_write_b32 acc10, v5                      // 
v_accvgpr_read_b32 v5, acc11                       // glvw 2 mb 0 tt1 11 r 0
s_nop 1                                            // v_accvgpr read vgpr after write vgpr: 2 wait states
ds_bpermute_b32 v5, v0, v5, offset:8               // permute edge values
s_waitcnt 0                                        // wait for swizzle operation
v_accvgpr_write_b32 acc11, v5                      // 
v_accvgpr_read_b32 v5, acc12                       // glvw 2 mb 0 tt1 12 r 0
s_nop 1                                            // v_accvgpr read vgpr after write vgpr: 2 wait states
ds_bpermute_b32 v5, v0, v5, offset:8               // permute edge values
s_waitcnt 0                                        // wait for swizzle operation
v_accvgpr_write_b32 acc12, v5                      // 
v_accvgpr_read_b32 v5, acc13                       // glvw 2 mb 0 tt1 13 r 0
s_nop 1                                            // v_accvgpr read vgpr after write vgpr: 2 wait states
ds_bpermute_b32 v5, v0, v5, offset:8               // permute edge values
s_waitcnt 0                                        // wait for swizzle operation
v_accvgpr_write_b32 acc13, v5                      // 
v_accvgpr_read_b32 v5, acc14                       // glvw 2 mb 0 tt1 14 r 0
s_nop 1                                            // v_accvgpr read vgpr after write vgpr: 2 wait states
ds_bpermute_b32 v5, v0, v5, offset:8               // permute edge values
s_waitcnt 0                                        // wait for swizzle operation
v_accvgpr_write_b32 acc14, v5                      // 
v_accvgpr_read_b32 v5, acc15                       // glvw 2 mb 0 tt1 15 r 0
s_nop 1                                            // v_accvgpr read vgpr after write vgpr: 2 wait states
ds_bpermute_b32 v5, v0, v5, offset:8               // permute edge values
s_waitcnt 0                                        // wait for swizzle operation
v_accvgpr_write_b32 acc15, v5                      // 
s_mov_b64 s[10:11], 0xFFFFFFFFFFFFFFFF             // to restore all threads active
s_or_saveexec_b64 vcc, s[10:11]                    // all threads active
s_branch label_0028                                // done shifting


/******************************************/
/* shift d0 r=3 mb=0 vw0                  */
/******************************************/
label_0027: // r3 mb0 vw0 
s_mov_b32 s10, 0                                   // 
_v_cmpx_eq_u32 s[10:11], v4, s10                   // is thread in edge glvw region
v_and_b32 v0, 63, v[vgprSerial]                    // permute register between threads
v_lshlrev_b32 v0, 2, v0                            // permute register between threads
v_accvgpr_read_b32 v5, acc0                        // glvw 3 mb 0 tt1 0 r 0
s_nop 1                                            // v_accvgpr read vgpr after write vgpr: 2 wait states
ds_bpermute_b32 v5, v0, v5, offset:4               // permute edge values
s_waitcnt 0                                        // wait for swizzle operation
v_accvgpr_write_b32 acc0, v5                       // 
v_accvgpr_read_b32 v5, acc1                        // glvw 3 mb 0 tt1 1 r 0
s_nop 1                                            // v_accvgpr read vgpr after write vgpr: 2 wait states
ds_bpermute_b32 v5, v0, v5, offset:4               // permute edge values
s_waitcnt 0                                        // wait for swizzle operation
v_accvgpr_write_b32 acc1, v5                       // 
v_accvgpr_read_b32 v5, acc2                        // glvw 3 mb 0 tt1 2 r 0
s_nop 1                                            // v_accvgpr read vgpr after write vgpr: 2 wait states
ds_bpermute_b32 v5, v0, v5, offset:4               // permute edge values
s_waitcnt 0                                        // wait for swizzle operation
v_accvgpr_write_b32 acc2, v5                       // 
v_accvgpr_read_b32 v5, acc3                        // glvw 3 mb 0 tt1 3 r 0
s_nop 1                                            // v_accvgpr read vgpr after write vgpr: 2 wait states
ds_bpermute_b32 v5, v0, v5, offset:4               // permute edge values
s_waitcnt 0                                        // wait for swizzle operation
v_accvgpr_write_b32 acc3, v5                       // 
v_accvgpr_read_b32 v5, acc4                        // glvw 3 mb 0 tt1 4 r 0
s_nop 1                                            // v_accvgpr read vgpr after write vgpr: 2 wait states
ds_bpermute_b32 v5, v0, v5, offset:4               // permute edge values
s_waitcnt 0                                        // wait for swizzle operation
v_accvgpr_write_b32 acc4, v5                       // 
v_accvgpr_read_b32 v5, acc5                        // glvw 3 mb 0 tt1 5 r 0
s_nop 1                                            // v_accvgpr read vgpr after write vgpr: 2 wait states
ds_bpermute_b32 v5, v0, v5, offset:4               // permute edge values
s_waitcnt 0                                        // wait for swizzle operation
v_accvgpr_write_b32 acc5, v5                       // 
v_accvgpr_read_b32 v5, acc6                        // glvw 3 mb 0 tt1 6 r 0
s_nop 1                                            // v_accvgpr read vgpr after write vgpr: 2 wait states
ds_bpermute_b32 v5, v0, v5, offset:4               // permute edge values
s_waitcnt 0                                        // wait for swizzle operation
v_accvgpr_write_b32 acc6, v5                       // 
v_accvgpr_read_b32 v5, acc7                        // glvw 3 mb 0 tt1 7 r 0
s_nop 1                                            // v_accvgpr read vgpr after write vgpr: 2 wait states
ds_bpermute_b32 v5, v0, v5, offset:4               // permute edge values
s_waitcnt 0                                        // wait for swizzle operation
v_accvgpr_write_b32 acc7, v5                       // 
v_accvgpr_read_b32 v5, acc8                        // glvw 3 mb 0 tt1 8 r 0
s_nop 1                                            // v_accvgpr read vgpr after write vgpr: 2 wait states
ds_bpermute_b32 v5, v0, v5, offset:4               // permute edge values
s_waitcnt 0                                        // wait for swizzle operation
v_accvgpr_write_b32 acc8, v5                       // 
v_accvgpr_read_b32 v5, acc9                        // glvw 3 mb 0 tt1 9 r 0
s_nop 1                                            // v_accvgpr read vgpr after write vgpr: 2 wait states
ds_bpermute_b32 v5, v0, v5, offset:4               // permute edge values
s_waitcnt 0                                        // wait for swizzle operation
v_accvgpr_write_b32 acc9, v5                       // 
v_accvgpr_read_b32 v5, acc10                       // glvw 3 mb 0 tt1 10 r 0
s_nop 1                                            // v_accvgpr read vgpr after write vgpr: 2 wait states
ds_bpermute_b32 v5, v0, v5, offset:4               // permute edge values
s_waitcnt 0                                        // wait for swizzle operation
v_accvgpr_write_b32 acc10, v5                      // 
v_accvgpr_read_b32 v5, acc11                       // glvw 3 mb 0 tt1 11 r 0
s_nop 1                                            // v_accvgpr read vgpr after write vgpr: 2 wait states
ds_bpermute_b32 v5, v0, v5, offset:4               // permute edge values
s_waitcnt 0                                        // wait for swizzle operation
v_accvgpr_write_b32 acc11, v5                      // 
v_accvgpr_read_b32 v5, acc12                       // glvw 3 mb 0 tt1 12 r 0
s_nop 1                                            // v_accvgpr read vgpr after write vgpr: 2 wait states
ds_bpermute_b32 v5, v0, v5, offset:4               // permute edge values
s_waitcnt 0                                        // wait for swizzle operation
v_accvgpr_write_b32 acc12, v5                      // 
v_accvgpr_read_b32 v5, acc13                       // glvw 3 mb 0 tt1 13 r 0
s_nop 1                                            // v_accvgpr read vgpr after write vgpr: 2 wait states
ds_bpermute_b32 v5, v0, v5, offset:4               // permute edge values
s_waitcnt 0                                        // wait for swizzle operation
v_accvgpr_write_b32 acc13, v5                      // 
v_accvgpr_read_b32 v5, acc14                       // glvw 3 mb 0 tt1 14 r 0
s_nop 1                                            // v_accvgpr read vgpr after write vgpr: 2 wait states
ds_bpermute_b32 v5, v0, v5, offset:4               // permute edge values
s_waitcnt 0                                        // wait for swizzle operation
v_accvgpr_write_b32 acc14, v5                      // 
v_accvgpr_read_b32 v5, acc15                       // glvw 3 mb 0 tt1 15 r 0
s_nop 1                                            // v_accvgpr read vgpr after write vgpr: 2 wait states
ds_bpermute_b32 v5, v0, v5, offset:4               // permute edge values
s_waitcnt 0                                        // wait for swizzle operation
v_accvgpr_write_b32 acc15, v5                      // 
s_mov_b64 s[10:11], 0xFFFFFFFFFFFFFFFF             // to restore all threads active
s_or_saveexec_b64 vcc, s[10:11]                    // all threads active
s_branch label_0028                                // done shifting

label_0028: // end shift0


/* shift vector components d1 */

v_mov_b32 v1, s[sgprWorkGroup1]                    // 
v_mul_i32_i24 v1, -0x80, v1                        // wg*MT
_v_add_co_u32 v1, vcc, s[sgprSizesFree+1], v1      // wgMT = Size - wg*MT
v_mov_b32 v2, 0x80                                 // MT
v_min_u32 v1, v2, v1                               // wgMT = (wgMT < MT) ? wgMT : MT
v_lshrrev_b32 v0, 6, v[vgprSerial]                 // v0 = v[vgprSerial] / 64
v_and_b32 v3, 3, v0                                // v3 = v0 % 4
v_lshrrev_b32 v0, 5, v1                            // v0 = v1 / 32
v_and_b32 v4, 3, v0                                // v4 = v0 % 4
v_cmp_eq_u32 s[10:11], v4, v3                      // wave_id == block_belong_to_wave?
v_cndmask_b32 v1, v2, v1, s[10:11]                 // wgMT = (wgMT < MT) ? wgMT : MT

/* mbReg: which mb block need to shift, mb(matrixInstCoal(32) * VectorWidth(1)) */
v_lshrrev_b32 v2, 3, v1                            // v2 = v1 / 8
v_lshlrev_b32 v4, 0x2, v3                          // v4 = v3 * 4
_v_sub_u32 v2, v2, v4                              // 

/* gbReg: glvw block id */
v_lshrrev_b32 v4, 3, v1                            // v4 = v1 / 8

/* tgbReg: glvw block id */
v_lshrrev_b32 v0, 5, v[vgprSerial]                 // v0 = v[vgprSerial] / 32
v_and_b32 v5, 1, v0                                // v5 = v0 % 2
v_lshlrev_b32 v5, 0x2, v5                          // v5 = v5 * 4
v_lshrrev_b32 v5, 3, v5                            // v5 = v5 / 8
v_lshlrev_b32 v3, 0x2, v3                          // v3 = v3 * 4
_v_add_co_u32 v5, vcc, v3, v5                      // tgbReg = (tid_coal * continOut) / GLVW
_v_sub_u32 v4, v4, v5                              // 

/* vwReg: glvw in which vw block? */
v_and_b32 v3, 3, v1                                // permute register between threads
v_lshrrev_b32 v3, 3, v3                            // permute register between threads

/* rReg : reminder of M_size % GlobalLoadVectorWidth */
v_and_b32 v5, 7, v1                                // v5 = v1 % 8
v_cmp_eq_u32 vcc, v5, 0x1                          // wgMT%VW == 1
s_cbranch_vccnz label_0031                         // branch to shift d1 r=1
v_cmp_eq_u32 vcc, v5, 0x2                          // wgMT%VW == 2
s_cbranch_vccnz label_0040                         // branch to shift d1 r=2
v_cmp_eq_u32 vcc, v5, 0x3                          // wgMT%VW == 3
s_cbranch_vccnz label_0049                         // branch to shift d1 r=3
v_cmp_eq_u32 vcc, v5, 0x4                          // wgMT%VW == 4
s_cbranch_vccnz label_0058                         // branch to shift d1 r=4
v_cmp_eq_u32 vcc, v5, 0x5                          // wgMT%VW == 5
s_cbranch_vccnz label_0067                         // branch to shift d1 r=5
v_cmp_eq_u32 vcc, v5, 0x6                          // wgMT%VW == 6
s_cbranch_vccnz label_0076                         // branch to shift d1 r=6
v_cmp_eq_u32 vcc, v5, 0x7                          // wgMT%VW == 7
s_cbranch_vccnz label_0085                         // branch to shift d1 r=7
s_branch label_0094                                // no shifting

/******************************************/
/* shift d1 r=1                           */
/******************************************/
label_0031:
v_cmp_eq_u32 vcc, v2, 0x0                          // 
s_cbranch_vccnz label_0032                         // branch to shift d1 r1 mb0
v_cmp_eq_u32 vcc, v2, 0x1                          // 
s_cbranch_vccnz label_0034                         // branch to shift d1 r1 mb1
v_cmp_eq_u32 vcc, v2, 0x2                          // 
s_cbranch_vccnz label_0036                         // branch to shift d1 r1 mb2
v_cmp_eq_u32 vcc, v2, 0x3                          // 
s_cbranch_vccnz label_0038                         // branch to shift d1 r1 mb3

/******************************************/
/* shift d1 r=2                           */
/******************************************/
label_0040:
v_cmp_eq_u32 vcc, v2, 0x0                          // 
s_cbranch_vccnz label_0041                         // branch to shift d1 r2 mb0
v_cmp_eq_u32 vcc, v2, 0x1                          // 
s_cbranch_vccnz label_0043                         // branch to shift d1 r2 mb1
v_cmp_eq_u32 vcc, v2, 0x2                          // 
s_cbranch_vccnz label_0045                         // branch to shift d1 r2 mb2
v_cmp_eq_u32 vcc, v2, 0x3                          // 
s_cbranch_vccnz label_0047                         // branch to shift d1 r2 mb3

/******************************************/
/* shift d1 r=3                           */
/******************************************/
label_0049:
v_cmp_eq_u32 vcc, v2, 0x0                          // 
s_cbranch_vccnz label_0050                         // branch to shift d1 r3 mb0
v_cmp_eq_u32 vcc, v2, 0x1                          // 
s_cbranch_vccnz label_0052                         // branch to shift d1 r3 mb1
v_cmp_eq_u32 vcc, v2, 0x2                          // 
s_cbranch_vccnz label_0054                         // branch to shift d1 r3 mb2
v_cmp_eq_u32 vcc, v2, 0x3                          // 
s_cbranch_vccnz label_0056                         // branch to shift d1 r3 mb3

/******************************************/
/* shift d1 r=4                           */
/******************************************/
label_0058:
v_cmp_eq_u32 vcc, v2, 0x0                          // 
s_cbranch_vccnz label_0059                         // branch to shift d1 r4 mb0
v_cmp_eq_u32 vcc, v2, 0x1                          // 
s_cbranch_vccnz label_0061                         // branch to shift d1 r4 mb1
v_cmp_eq_u32 vcc, v2, 0x2                          // 
s_cbranch_vccnz label_0063                         // branch to shift d1 r4 mb2
v_cmp_eq_u32 vcc, v2, 0x3                          // 
s_cbranch_vccnz label_0065                         // branch to shift d1 r4 mb3

/******************************************/
/* shift d1 r=5                           */
/******************************************/
label_0067:
v_cmp_eq_u32 vcc, v2, 0x0                          // 
s_cbranch_vccnz label_0068                         // branch to shift d1 r5 mb0
v_cmp_eq_u32 vcc, v2, 0x1                          // 
s_cbranch_vccnz label_0070                         // branch to shift d1 r5 mb1
v_cmp_eq_u32 vcc, v2, 0x2                          // 
s_cbranch_vccnz label_0072                         // branch to shift d1 r5 mb2
v_cmp_eq_u32 vcc, v2, 0x3                          // 
s_cbranch_vccnz label_0074                         // branch to shift d1 r5 mb3

/******************************************/
/* shift d1 r=6                           */
/******************************************/
label_0076:
v_cmp_eq_u32 vcc, v2, 0x0                          // 
s_cbranch_vccnz label_0077                         // branch to shift d1 r6 mb0
v_cmp_eq_u32 vcc, v2, 0x1                          // 
s_cbranch_vccnz label_0079                         // branch to shift d1 r6 mb1
v_cmp_eq_u32 vcc, v2, 0x2                          // 
s_cbranch_vccnz label_0081                         // branch to shift d1 r6 mb2
v_cmp_eq_u32 vcc, v2, 0x3                          // 
s_cbranch_vccnz label_0083                         // branch to shift d1 r6 mb3

/******************************************/
/* shift d1 r=7                           */
/******************************************/
label_0085:
v_cmp_eq_u32 vcc, v2, 0x0                          // 
s_cbranch_vccnz label_0086                         // branch to shift d1 r7 mb0
v_cmp_eq_u32 vcc, v2, 0x1                          // 
s_cbranch_vccnz label_0088                         // branch to shift d1 r7 mb1
v_cmp_eq_u32 vcc, v2, 0x2                          // 
s_cbranch_vccnz label_0090                         // branch to shift d1 r7 mb2
v_cmp_eq_u32 vcc, v2, 0x3                          // 
s_cbranch_vccnz label_0092                         // branch to shift d1 r7 mb3

/******************************************/
/* shift d1 r=1 mb=0                      */
/******************************************/
label_0032: // r1 mb0 
v_cmp_eq_u32 vcc, v3, 0x0                          // 
s_cbranch_vccnz label_0033                         // branch to shift d1 r1 mb0 vw0

/******************************************/
/* shift d1 r=1 mb=1                      */
/******************************************/
label_0034: // r1 mb1 
v_cmp_eq_u32 vcc, v3, 0x0                          // 
s_cbranch_vccnz label_0035                         // branch to shift d1 r1 mb1 vw0

/******************************************/
/* shift d1 r=1 mb=2                      */
/******************************************/
label_0036: // r1 mb2 
v_cmp_eq_u32 vcc, v3, 0x0                          // 
s_cbranch_vccnz label_0037                         // branch to shift d1 r1 mb2 vw0

/******************************************/
/* shift d1 r=1 mb=3                      */
/******************************************/
label_0038: // r1 mb3 
v_cmp_eq_u32 vcc, v3, 0x0                          // 
s_cbranch_vccnz label_0039                         // branch to shift d1 r1 mb3 vw0

/******************************************/
/* shift d1 r=2 mb=0                      */
/******************************************/
label_0041: // r2 mb0 
v_cmp_eq_u32 vcc, v3, 0x0                          // 
s_cbranch_vccnz label_0042                         // branch to shift d1 r2 mb0 vw0

/******************************************/
/* shift d1 r=2 mb=1                      */
/******************************************/
label_0043: // r2 mb1 
v_cmp_eq_u32 vcc, v3, 0x0                          // 
s_cbranch_vccnz label_0044                         // branch to shift d1 r2 mb1 vw0

/******************************************/
/* shift d1 r=2 mb=2                      */
/******************************************/
label_0045: // r2 mb2 
v_cmp_eq_u32 vcc, v3, 0x0                          // 
s_cbranch_vccnz label_0046                         // branch to shift d1 r2 mb2 vw0

/******************************************/
/* shift d1 r=2 mb=3                      */
/******************************************/
label_0047: // r2 mb3 
v_cmp_eq_u32 vcc, v3, 0x0                          // 
s_cbranch_vccnz label_0048                         // branch to shift d1 r2 mb3 vw0

/******************************************/
/* shift d1 r=3 mb=0                      */
/******************************************/
label_0050: // r3 mb0 
v_cmp_eq_u32 vcc, v3, 0x0                          // 
s_cbranch_vccnz label_0051                         // branch to shift d1 r3 mb0 vw0

/******************************************/
/* shift d1 r=3 mb=1                      */
/******************************************/
label_0052: // r3 mb1 
v_cmp_eq_u32 vcc, v3, 0x0                          // 
s_cbranch_vccnz label_0053                         // branch to shift d1 r3 mb1 vw0

/******************************************/
/* shift d1 r=3 mb=2                      */
/******************************************/
label_0054: // r3 mb2 
v_cmp_eq_u32 vcc, v3, 0x0                          // 
s_cbranch_vccnz label_0055                         // branch to shift d1 r3 mb2 vw0

/******************************************/
/* shift d1 r=3 mb=3                      */
/******************************************/
label_0056: // r3 mb3 
v_cmp_eq_u32 vcc, v3, 0x0                          // 
s_cbranch_vccnz label_0057                         // branch to shift d1 r3 mb3 vw0

/******************************************/
/* shift d1 r=4 mb=0                      */
/******************************************/
label_0059: // r4 mb0 
v_cmp_eq_u32 vcc, v3, 0x0                          // 
s_cbranch_vccnz label_0060                         // branch to shift d1 r4 mb0 vw0

/******************************************/
/* shift d1 r=4 mb=1                      */
/******************************************/
label_0061: // r4 mb1 
v_cmp_eq_u32 vcc, v3, 0x0                          // 
s_cbranch_vccnz label_0062                         // branch to shift d1 r4 mb1 vw0

/******************************************/
/* shift d1 r=4 mb=2                      */
/******************************************/
label_0063: // r4 mb2 
v_cmp_eq_u32 vcc, v3, 0x0                          // 
s_cbranch_vccnz label_0064                         // branch to shift d1 r4 mb2 vw0

/******************************************/
/* shift d1 r=4 mb=3                      */
/******************************************/
label_0065: // r4 mb3 
v_cmp_eq_u32 vcc, v3, 0x0                          // 
s_cbranch_vccnz label_0066                         // branch to shift d1 r4 mb3 vw0

/******************************************/
/* shift d1 r=5 mb=0                      */
/******************************************/
label_0068: // r5 mb0 
v_cmp_eq_u32 vcc, v3, 0x0                          // 
s_cbranch_vccnz label_0069                         // branch to shift d1 r5 mb0 vw0

/******************************************/
/* shift d1 r=5 mb=1                      */
/******************************************/
label_0070: // r5 mb1 
v_cmp_eq_u32 vcc, v3, 0x0                          // 
s_cbranch_vccnz label_0071                         // branch to shift d1 r5 mb1 vw0

/******************************************/
/* shift d1 r=5 mb=2                      */
/******************************************/
label_0072: // r5 mb2 
v_cmp_eq_u32 vcc, v3, 0x0                          // 
s_cbranch_vccnz label_0073                         // branch to shift d1 r5 mb2 vw0

/******************************************/
/* shift d1 r=5 mb=3                      */
/******************************************/
label_0074: // r5 mb3 
v_cmp_eq_u32 vcc, v3, 0x0                          // 
s_cbranch_vccnz label_0075                         // branch to shift d1 r5 mb3 vw0

/******************************************/
/* shift d1 r=6 mb=0                      */
/******************************************/
label_0077: // r6 mb0 
v_cmp_eq_u32 vcc, v3, 0x0                          // 
s_cbranch_vccnz label_0078                         // branch to shift d1 r6 mb0 vw0

/******************************************/
/* shift d1 r=6 mb=1                      */
/******************************************/
label_0079: // r6 mb1 
v_cmp_eq_u32 vcc, v3, 0x0                          // 
s_cbranch_vccnz label_0080                         // branch to shift d1 r6 mb1 vw0

/******************************************/
/* shift d1 r=6 mb=2                      */
/******************************************/
label_0081: // r6 mb2 
v_cmp_eq_u32 vcc, v3, 0x0                          // 
s_cbranch_vccnz label_0082                         // branch to shift d1 r6 mb2 vw0

/******************************************/
/* shift d1 r=6 mb=3                      */
/******************************************/
label_0083: // r6 mb3 
v_cmp_eq_u32 vcc, v3, 0x0                          // 
s_cbranch_vccnz label_0084                         // branch to shift d1 r6 mb3 vw0

/******************************************/
/* shift d1 r=7 mb=0                      */
/******************************************/
label_0086: // r7 mb0 
v_cmp_eq_u32 vcc, v3, 0x0                          // 
s_cbranch_vccnz label_0087                         // branch to shift d1 r7 mb0 vw0

/******************************************/
/* shift d1 r=7 mb=1                      */
/******************************************/
label_0088: // r7 mb1 
v_cmp_eq_u32 vcc, v3, 0x0                          // 
s_cbranch_vccnz label_0089                         // branch to shift d1 r7 mb1 vw0

/******************************************/
/* shift d1 r=7 mb=2                      */
/******************************************/
label_0090: // r7 mb2 
v_cmp_eq_u32 vcc, v3, 0x0                          // 
s_cbranch_vccnz label_0091                         // branch to shift d1 r7 mb2 vw0

/******************************************/
/* shift d1 r=7 mb=3                      */
/******************************************/
label_0092: // r7 mb3 
v_cmp_eq_u32 vcc, v3, 0x0                          // 
s_cbranch_vccnz label_0093                         // branch to shift d1 r7 mb3 vw0

/******************************************/
/* shift d1 r=1 mb=0 vw0                  */
/******************************************/
label_0033: // r1 mb0 vw0 
s_mov_b32 s10, 0                                   // 
_v_cmpx_eq_u32 s[10:11], v4, s10                   // is thread in edge glvw region
v_and_b32 v0, 63, v[vgprSerial]                    // permute register between threads
v_lshlrev_b32 v0, 2, v0                            // permute register between threads
v_accvgpr_read_b32 v5, acc3                        // glvw 1 mb 0 tt1 0 r 0
s_nop 1                                            // v_accvgpr read vgpr after write vgpr: 2 wait states
ds_bpermute_b32 v5, v0, v5, offset:128             // permute edge values
s_waitcnt 0                                        // wait for swizzle operation
v_accvgpr_write_b32 acc0, v5                       // 
s_mov_b64 s[10:11], 0xFFFFFFFFFFFFFFFF             // to restore all threads active
s_or_saveexec_b64 vcc, s[10:11]                    // all threads active
s_branch label_0094                                // done shifting


/******************************************/
/* shift d1 r=1 mb=1 vw0                  */
/******************************************/
label_0035: // r1 mb1 vw0 
s_mov_b32 s10, 1                                   // 
_v_cmpx_eq_u32 s[10:11], v4, s10                   // is thread in edge glvw region
v_and_b32 v0, 63, v[vgprSerial]                    // permute register between threads
v_lshlrev_b32 v0, 2, v0                            // permute register between threads
v_accvgpr_read_b32 v5, acc7                        // glvw 1 mb 1 tt1 0 r 0
s_nop 1                                            // v_accvgpr read vgpr after write vgpr: 2 wait states
ds_bpermute_b32 v5, v0, v5, offset:128             // permute edge values
s_waitcnt 0                                        // wait for swizzle operation
v_accvgpr_write_b32 acc4, v5                       // 
s_mov_b64 s[10:11], 0xFFFFFFFFFFFFFFFF             // to restore all threads active
s_or_saveexec_b64 vcc, s[10:11]                    // all threads active
s_branch label_0094                                // done shifting


/******************************************/
/* shift d1 r=1 mb=2 vw0                  */
/******************************************/
label_0037: // r1 mb2 vw0 
s_mov_b32 s10, 2                                   // 
_v_cmpx_eq_u32 s[10:11], v4, s10                   // is thread in edge glvw region
v_and_b32 v0, 63, v[vgprSerial]                    // permute register between threads
v_lshlrev_b32 v0, 2, v0                            // permute register between threads
v_accvgpr_read_b32 v5, acc11                       // glvw 1 mb 2 tt1 0 r 0
s_nop 1                                            // v_accvgpr read vgpr after write vgpr: 2 wait states
ds_bpermute_b32 v5, v0, v5, offset:128             // permute edge values
s_waitcnt 0                                        // wait for swizzle operation
v_accvgpr_write_b32 acc8, v5                       // 
s_mov_b64 s[10:11], 0xFFFFFFFFFFFFFFFF             // to restore all threads active
s_or_saveexec_b64 vcc, s[10:11]                    // all threads active
s_branch label_0094                                // done shifting


/******************************************/
/* shift d1 r=1 mb=3 vw0                  */
/******************************************/
label_0039: // r1 mb3 vw0 
s_mov_b32 s10, 3                                   // 
_v_cmpx_eq_u32 s[10:11], v4, s10                   // is thread in edge glvw region
v_and_b32 v0, 63, v[vgprSerial]                    // permute register between threads
v_lshlrev_b32 v0, 2, v0                            // permute register between threads
v_accvgpr_read_b32 v5, acc15                       // glvw 1 mb 3 tt1 0 r 0
s_nop 1                                            // v_accvgpr read vgpr after write vgpr: 2 wait states
ds_bpermute_b32 v5, v0, v5, offset:128             // permute edge values
s_waitcnt 0                                        // wait for swizzle operation
v_accvgpr_write_b32 acc12, v5                      // 
s_mov_b64 s[10:11], 0xFFFFFFFFFFFFFFFF             // to restore all threads active
s_or_saveexec_b64 vcc, s[10:11]                    // all threads active
s_branch label_0094                                // done shifting


/******************************************/
/* shift d1 r=2 mb=0 vw0                  */
/******************************************/
label_0042: // r2 mb0 vw0 
s_mov_b32 s10, 0                                   // 
_v_cmpx_eq_u32 s[10:11], v4, s10                   // is thread in edge glvw region
v_and_b32 v0, 63, v[vgprSerial]                    // permute register between threads
v_lshlrev_b32 v0, 2, v0                            // permute register between threads
v_accvgpr_read_b32 v5, acc2                        // glvw 2 mb 0 tt1 0 r 0
v_accvgpr_read_b32 v6, acc3                        // glvw 2 mb 0 tt1 0 r 0
s_nop 1                                            // v_accvgpr read vgpr after write vgpr: 2 wait states
ds_bpermute_b32 v5, v0, v5, offset:128             // permute edge values
ds_bpermute_b32 v6, v0, v6, offset:128             // permute edge values
s_waitcnt 0                                        // wait for swizzle operation
v_accvgpr_write_b32 acc0, v5                       // 
v_accvgpr_write_b32 acc1, v6                       // 
s_mov_b64 s[10:11], 0xFFFFFFFFFFFFFFFF             // to restore all threads active
s_or_saveexec_b64 vcc, s[10:11]                    // all threads active
s_branch label_0094                                // done shifting


/******************************************/
/* shift d1 r=2 mb=1 vw0                  */
/******************************************/
label_0044: // r2 mb1 vw0 
s_mov_b32 s10, 1                                   // 
_v_cmpx_eq_u32 s[10:11], v4, s10                   // is thread in edge glvw region
v_and_b32 v0, 63, v[vgprSerial]                    // permute register between threads
v_lshlrev_b32 v0, 2, v0                            // permute register between threads
v_accvgpr_read_b32 v5, acc6                        // glvw 2 mb 1 tt1 0 r 0
v_accvgpr_read_b32 v6, acc7                        // glvw 2 mb 1 tt1 0 r 0
s_nop 1                                            // v_accvgpr read vgpr after write vgpr: 2 wait states
ds_bpermute_b32 v5, v0, v5, offset:128             // permute edge values
ds_bpermute_b32 v6, v0, v6, offset:128             // permute edge values
s_waitcnt 0                                        // wait for swizzle operation
v_accvgpr_write_b32 acc4, v5                       // 
v_accvgpr_write_b32 acc5, v6                       // 
s_mov_b64 s[10:11], 0xFFFFFFFFFFFFFFFF             // to restore all threads active
s_or_saveexec_b64 vcc, s[10:11]                    // all threads active
s_branch label_0094                                // done shifting


/******************************************/
/* shift d1 r=2 mb=2 vw0                  */
/******************************************/
label_0046: // r2 mb2 vw0 
s_mov_b32 s10, 2                                   // 
_v_cmpx_eq_u32 s[10:11], v4, s10                   // is thread in edge glvw region
v_and_b32 v0, 63, v[vgprSerial]                    // permute register between threads
v_lshlrev_b32 v0, 2, v0                            // permute register between threads
v_accvgpr_read_b32 v5, acc10                       // glvw 2 mb 2 tt1 0 r 0
v_accvgpr_read_b32 v6, acc11                       // glvw 2 mb 2 tt1 0 r 0
s_nop 1                                            // v_accvgpr read vgpr after write vgpr: 2 wait states
ds_bpermute_b32 v5, v0, v5, offset:128             // permute edge values
ds_bpermute_b32 v6, v0, v6, offset:128             // permute edge values
s_waitcnt 0                                        // wait for swizzle operation
v_accvgpr_write_b32 acc8, v5                       // 
v_accvgpr_write_b32 acc9, v6                       // 
s_mov_b64 s[10:11], 0xFFFFFFFFFFFFFFFF             // to restore all threads active
s_or_saveexec_b64 vcc, s[10:11]                    // all threads active
s_branch label_0094                                // done shifting


/******************************************/
/* shift d1 r=2 mb=3 vw0                  */
/******************************************/
label_0048: // r2 mb3 vw0 
s_mov_b32 s10, 3                                   // 
_v_cmpx_eq_u32 s[10:11], v4, s10                   // is thread in edge glvw region
v_and_b32 v0, 63, v[vgprSerial]                    // permute register between threads
v_lshlrev_b32 v0, 2, v0                            // permute register between threads
v_accvgpr_read_b32 v5, acc14                       // glvw 2 mb 3 tt1 0 r 0
v_accvgpr_read_b32 v6, acc15                       // glvw 2 mb 3 tt1 0 r 0
s_nop 1                                            // v_accvgpr read vgpr after write vgpr: 2 wait states
ds_bpermute_b32 v5, v0, v5, offset:128             // permute edge values
ds_bpermute_b32 v6, v0, v6, offset:128             // permute edge values
s_waitcnt 0                                        // wait for swizzle operation
v_accvgpr_write_b32 acc12, v5                      // 
v_accvgpr_write_b32 acc13, v6                      // 
s_mov_b64 s[10:11], 0xFFFFFFFFFFFFFFFF             // to restore all threads active
s_or_saveexec_b64 vcc, s[10:11]                    // all threads active
s_branch label_0094                                // done shifting


/******************************************/
/* shift d1 r=3 mb=0 vw0                  */
/******************************************/
label_0051: // r3 mb0 vw0 
s_mov_b32 s10, 0                                   // 
_v_cmpx_eq_u32 s[10:11], v4, s10                   // is thread in edge glvw region
v_and_b32 v0, 63, v[vgprSerial]                    // permute register between threads
v_lshlrev_b32 v0, 2, v0                            // permute register between threads
v_accvgpr_read_b32 v5, acc1                        // glvw 3 mb 0 tt1 0 r 0
v_accvgpr_read_b32 v6, acc2                        // glvw 3 mb 0 tt1 0 r 0
v_accvgpr_read_b32 v7, acc3                        // glvw 3 mb 0 tt1 0 r 0
s_nop 1                                            // v_accvgpr read vgpr after write vgpr: 2 wait states
ds_bpermute_b32 v5, v0, v5, offset:128             // permute edge values
ds_bpermute_b32 v6, v0, v6, offset:128             // permute edge values
	;; [unrolled: 1-line block ×3, first 2 shown]
s_waitcnt 0                                        // wait for swizzle operation
v_accvgpr_write_b32 acc0, v5                       // 
v_accvgpr_write_b32 acc1, v6                       // 
v_accvgpr_write_b32 acc2, v7                       // 
s_mov_b64 s[10:11], 0xFFFFFFFFFFFFFFFF             // to restore all threads active
s_or_saveexec_b64 vcc, s[10:11]                    // all threads active
s_branch label_0094                                // done shifting


/******************************************/
/* shift d1 r=3 mb=1 vw0                  */
/******************************************/
label_0053: // r3 mb1 vw0 
s_mov_b32 s10, 1                                   // 
_v_cmpx_eq_u32 s[10:11], v4, s10                   // is thread in edge glvw region
v_and_b32 v0, 63, v[vgprSerial]                    // permute register between threads
v_lshlrev_b32 v0, 2, v0                            // permute register between threads
v_accvgpr_read_b32 v5, acc5                        // glvw 3 mb 1 tt1 0 r 0
v_accvgpr_read_b32 v6, acc6                        // glvw 3 mb 1 tt1 0 r 0
v_accvgpr_read_b32 v7, acc7                        // glvw 3 mb 1 tt1 0 r 0
s_nop 1                                            // v_accvgpr read vgpr after write vgpr: 2 wait states
ds_bpermute_b32 v5, v0, v5, offset:128             // permute edge values
ds_bpermute_b32 v6, v0, v6, offset:128             // permute edge values
	;; [unrolled: 1-line block ×3, first 2 shown]
s_waitcnt 0                                        // wait for swizzle operation
v_accvgpr_write_b32 acc4, v5                       // 
v_accvgpr_write_b32 acc5, v6                       // 
v_accvgpr_write_b32 acc6, v7                       // 
s_mov_b64 s[10:11], 0xFFFFFFFFFFFFFFFF             // to restore all threads active
s_or_saveexec_b64 vcc, s[10:11]                    // all threads active
s_branch label_0094                                // done shifting


/******************************************/
/* shift d1 r=3 mb=2 vw0                  */
/******************************************/
label_0055: // r3 mb2 vw0 
s_mov_b32 s10, 2                                   // 
_v_cmpx_eq_u32 s[10:11], v4, s10                   // is thread in edge glvw region
v_and_b32 v0, 63, v[vgprSerial]                    // permute register between threads
v_lshlrev_b32 v0, 2, v0                            // permute register between threads
v_accvgpr_read_b32 v5, acc9                        // glvw 3 mb 2 tt1 0 r 0
v_accvgpr_read_b32 v6, acc10                       // glvw 3 mb 2 tt1 0 r 0
v_accvgpr_read_b32 v7, acc11                       // glvw 3 mb 2 tt1 0 r 0
s_nop 1                                            // v_accvgpr read vgpr after write vgpr: 2 wait states
ds_bpermute_b32 v5, v0, v5, offset:128             // permute edge values
ds_bpermute_b32 v6, v0, v6, offset:128             // permute edge values
	;; [unrolled: 1-line block ×3, first 2 shown]
s_waitcnt 0                                        // wait for swizzle operation
v_accvgpr_write_b32 acc8, v5                       // 
v_accvgpr_write_b32 acc9, v6                       // 
v_accvgpr_write_b32 acc10, v7                      // 
s_mov_b64 s[10:11], 0xFFFFFFFFFFFFFFFF             // to restore all threads active
s_or_saveexec_b64 vcc, s[10:11]                    // all threads active
s_branch label_0094                                // done shifting


/******************************************/
/* shift d1 r=3 mb=3 vw0                  */
/******************************************/
label_0057: // r3 mb3 vw0 
s_mov_b32 s10, 3                                   // 
_v_cmpx_eq_u32 s[10:11], v4, s10                   // is thread in edge glvw region
v_and_b32 v0, 63, v[vgprSerial]                    // permute register between threads
v_lshlrev_b32 v0, 2, v0                            // permute register between threads
v_accvgpr_read_b32 v5, acc13                       // glvw 3 mb 3 tt1 0 r 0
v_accvgpr_read_b32 v6, acc14                       // glvw 3 mb 3 tt1 0 r 0
v_accvgpr_read_b32 v7, acc15                       // glvw 3 mb 3 tt1 0 r 0
s_nop 1                                            // v_accvgpr read vgpr after write vgpr: 2 wait states
ds_bpermute_b32 v5, v0, v5, offset:128             // permute edge values
ds_bpermute_b32 v6, v0, v6, offset:128             // permute edge values
	;; [unrolled: 1-line block ×3, first 2 shown]
s_waitcnt 0                                        // wait for swizzle operation
v_accvgpr_write_b32 acc12, v5                      // 
v_accvgpr_write_b32 acc13, v6                      // 
v_accvgpr_write_b32 acc14, v7                      // 
s_mov_b64 s[10:11], 0xFFFFFFFFFFFFFFFF             // to restore all threads active
s_or_saveexec_b64 vcc, s[10:11]                    // all threads active
s_branch label_0094                                // done shifting


/******************************************/
/* shift d1 r=4 mb=0 vw0                  */
/******************************************/
label_0060: // r4 mb0 vw0 
s_mov_b32 s10, 0                                   // 
_v_cmpx_eq_u32 s[10:11], v4, s10                   // is thread in edge glvw region
v_and_b32 v0, 63, v[vgprSerial]                    // permute register between threads
v_lshlrev_b32 v0, 2, v0                            // permute register between threads
v_accvgpr_read_b32 v5, acc0                        // glvw 4 mb 0 tt1 0 r 0
v_accvgpr_read_b32 v6, acc1                        // glvw 4 mb 0 tt1 0 r 0
v_accvgpr_read_b32 v7, acc2                        // glvw 4 mb 0 tt1 0 r 0
v_accvgpr_read_b32 v8, acc3                        // glvw 4 mb 0 tt1 0 r 0
s_nop 1                                            // v_accvgpr read vgpr after write vgpr: 2 wait states
ds_bpermute_b32 v5, v0, v5, offset:128             // permute edge values
ds_bpermute_b32 v6, v0, v6, offset:128             // permute edge values
ds_bpermute_b32 v7, v0, v7, offset:128             // permute edge values
ds_bpermute_b32 v8, v0, v8, offset:128             // permute edge values
s_waitcnt 0                                        // wait for swizzle operation
v_accvgpr_write_b32 acc0, v5                       // 
v_accvgpr_write_b32 acc1, v6                       // 
v_accvgpr_write_b32 acc2, v7                       // 
v_accvgpr_write_b32 acc3, v8                       // 
s_mov_b64 s[10:11], 0xFFFFFFFFFFFFFFFF             // to restore all threads active
s_or_saveexec_b64 vcc, s[10:11]                    // all threads active
s_branch label_0094                                // done shifting


/******************************************/
/* shift d1 r=4 mb=1 vw0                  */
/******************************************/
label_0062: // r4 mb1 vw0 
s_mov_b32 s10, 1                                   // 
_v_cmpx_eq_u32 s[10:11], v4, s10                   // is thread in edge glvw region
v_and_b32 v0, 63, v[vgprSerial]                    // permute register between threads
v_lshlrev_b32 v0, 2, v0                            // permute register between threads
v_accvgpr_read_b32 v5, acc4                        // glvw 4 mb 1 tt1 0 r 0
v_accvgpr_read_b32 v6, acc5                        // glvw 4 mb 1 tt1 0 r 0
v_accvgpr_read_b32 v7, acc6                        // glvw 4 mb 1 tt1 0 r 0
v_accvgpr_read_b32 v8, acc7                        // glvw 4 mb 1 tt1 0 r 0
s_nop 1                                            // v_accvgpr read vgpr after write vgpr: 2 wait states
ds_bpermute_b32 v5, v0, v5, offset:128             // permute edge values
ds_bpermute_b32 v6, v0, v6, offset:128             // permute edge values
	;; [unrolled: 1-line block ×4, first 2 shown]
s_waitcnt 0                                        // wait for swizzle operation
v_accvgpr_write_b32 acc4, v5                       // 
v_accvgpr_write_b32 acc5, v6                       // 
v_accvgpr_write_b32 acc6, v7                       // 
v_accvgpr_write_b32 acc7, v8                       // 
s_mov_b64 s[10:11], 0xFFFFFFFFFFFFFFFF             // to restore all threads active
s_or_saveexec_b64 vcc, s[10:11]                    // all threads active
s_branch label_0094                                // done shifting


/******************************************/
/* shift d1 r=4 mb=2 vw0                  */
/******************************************/
label_0064: // r4 mb2 vw0 
s_mov_b32 s10, 2                                   // 
_v_cmpx_eq_u32 s[10:11], v4, s10                   // is thread in edge glvw region
v_and_b32 v0, 63, v[vgprSerial]                    // permute register between threads
v_lshlrev_b32 v0, 2, v0                            // permute register between threads
v_accvgpr_read_b32 v5, acc8                        // glvw 4 mb 2 tt1 0 r 0
v_accvgpr_read_b32 v6, acc9                        // glvw 4 mb 2 tt1 0 r 0
v_accvgpr_read_b32 v7, acc10                       // glvw 4 mb 2 tt1 0 r 0
v_accvgpr_read_b32 v8, acc11                       // glvw 4 mb 2 tt1 0 r 0
s_nop 1                                            // v_accvgpr read vgpr after write vgpr: 2 wait states
ds_bpermute_b32 v5, v0, v5, offset:128             // permute edge values
ds_bpermute_b32 v6, v0, v6, offset:128             // permute edge values
	;; [unrolled: 1-line block ×4, first 2 shown]
s_waitcnt 0                                        // wait for swizzle operation
v_accvgpr_write_b32 acc8, v5                       // 
v_accvgpr_write_b32 acc9, v6                       // 
v_accvgpr_write_b32 acc10, v7                      // 
v_accvgpr_write_b32 acc11, v8                      // 
s_mov_b64 s[10:11], 0xFFFFFFFFFFFFFFFF             // to restore all threads active
s_or_saveexec_b64 vcc, s[10:11]                    // all threads active
s_branch label_0094                                // done shifting


/******************************************/
/* shift d1 r=4 mb=3 vw0                  */
/******************************************/
label_0066: // r4 mb3 vw0 
s_mov_b32 s10, 3                                   // 
_v_cmpx_eq_u32 s[10:11], v4, s10                   // is thread in edge glvw region
v_and_b32 v0, 63, v[vgprSerial]                    // permute register between threads
v_lshlrev_b32 v0, 2, v0                            // permute register between threads
v_accvgpr_read_b32 v5, acc12                       // glvw 4 mb 3 tt1 0 r 0
v_accvgpr_read_b32 v6, acc13                       // glvw 4 mb 3 tt1 0 r 0
v_accvgpr_read_b32 v7, acc14                       // glvw 4 mb 3 tt1 0 r 0
v_accvgpr_read_b32 v8, acc15                       // glvw 4 mb 3 tt1 0 r 0
s_nop 1                                            // v_accvgpr read vgpr after write vgpr: 2 wait states
ds_bpermute_b32 v5, v0, v5, offset:128             // permute edge values
ds_bpermute_b32 v6, v0, v6, offset:128             // permute edge values
	;; [unrolled: 1-line block ×4, first 2 shown]
s_waitcnt 0                                        // wait for swizzle operation
v_accvgpr_write_b32 acc12, v5                      // 
v_accvgpr_write_b32 acc13, v6                      // 
v_accvgpr_write_b32 acc14, v7                      // 
v_accvgpr_write_b32 acc15, v8                      // 
s_mov_b64 s[10:11], 0xFFFFFFFFFFFFFFFF             // to restore all threads active
s_or_saveexec_b64 vcc, s[10:11]                    // all threads active
s_branch label_0094                                // done shifting


/******************************************/
/* shift d1 r=5 mb=0 vw0                  */
/******************************************/
label_0069: // r5 mb0 vw0 
s_mov_b32 s10, 0                                   // 
_v_cmpx_eq_u32 s[10:11], v4, s10                   // is thread in edge glvw region
v_and_b32 v0, 63, v[vgprSerial]                    // permute register between threads
v_lshlrev_b32 v0, 2, v0                            // permute register between threads
v_accvgpr_read_b32 v5, acc3                        // glvw 5 mb 0 tt1 0 r 0
v_accvgpr_read_b32 v6, acc0                        // glvw 5 mb 0 tt1 0 r 0
v_accvgpr_read_b32 v7, acc1                        // glvw 5 mb 0 tt1 0 r 0
v_accvgpr_read_b32 v8, acc2                        // glvw 5 mb 0 tt1 0 r 0
s_nop 1                                            // v_accvgpr read vgpr after write vgpr: 2 wait states
ds_bpermute_b32 v6, v0, v6, offset:128             // permute edge values
ds_bpermute_b32 v7, v0, v7, offset:128             // permute edge values
	;; [unrolled: 1-line block ×3, first 2 shown]
s_waitcnt 0                                        // wait for swizzle operation
v_accvgpr_write_b32 acc0, v5                       // 
v_accvgpr_write_b32 acc1, v6                       // 
v_accvgpr_write_b32 acc2, v7                       // 
v_accvgpr_write_b32 acc3, v8                       // 
s_mov_b64 s[10:11], 0xFFFFFFFFFFFFFFFF             // to restore all threads active
s_or_saveexec_b64 vcc, s[10:11]                    // all threads active
s_branch label_0094                                // done shifting


/******************************************/
/* shift d1 r=5 mb=1 vw0                  */
/******************************************/
label_0071: // r5 mb1 vw0 
s_mov_b32 s10, 1                                   // 
_v_cmpx_eq_u32 s[10:11], v4, s10                   // is thread in edge glvw region
v_and_b32 v0, 63, v[vgprSerial]                    // permute register between threads
v_lshlrev_b32 v0, 2, v0                            // permute register between threads
v_accvgpr_read_b32 v5, acc7                        // glvw 5 mb 1 tt1 0 r 0
v_accvgpr_read_b32 v6, acc4                        // glvw 5 mb 1 tt1 0 r 0
v_accvgpr_read_b32 v7, acc5                        // glvw 5 mb 1 tt1 0 r 0
v_accvgpr_read_b32 v8, acc6                        // glvw 5 mb 1 tt1 0 r 0
s_nop 1                                            // v_accvgpr read vgpr after write vgpr: 2 wait states
ds_bpermute_b32 v6, v0, v6, offset:128             // permute edge values
ds_bpermute_b32 v7, v0, v7, offset:128             // permute edge values
	;; [unrolled: 1-line block ×3, first 2 shown]
s_waitcnt 0                                        // wait for swizzle operation
v_accvgpr_write_b32 acc4, v5                       // 
v_accvgpr_write_b32 acc5, v6                       // 
v_accvgpr_write_b32 acc6, v7                       // 
v_accvgpr_write_b32 acc7, v8                       // 
s_mov_b64 s[10:11], 0xFFFFFFFFFFFFFFFF             // to restore all threads active
s_or_saveexec_b64 vcc, s[10:11]                    // all threads active
s_branch label_0094                                // done shifting


/******************************************/
/* shift d1 r=5 mb=2 vw0                  */
/******************************************/
label_0073: // r5 mb2 vw0 
s_mov_b32 s10, 2                                   // 
_v_cmpx_eq_u32 s[10:11], v4, s10                   // is thread in edge glvw region
v_and_b32 v0, 63, v[vgprSerial]                    // permute register between threads
v_lshlrev_b32 v0, 2, v0                            // permute register between threads
v_accvgpr_read_b32 v5, acc11                       // glvw 5 mb 2 tt1 0 r 0
v_accvgpr_read_b32 v6, acc8                        // glvw 5 mb 2 tt1 0 r 0
v_accvgpr_read_b32 v7, acc9                        // glvw 5 mb 2 tt1 0 r 0
v_accvgpr_read_b32 v8, acc10                       // glvw 5 mb 2 tt1 0 r 0
s_nop 1                                            // v_accvgpr read vgpr after write vgpr: 2 wait states
ds_bpermute_b32 v6, v0, v6, offset:128             // permute edge values
ds_bpermute_b32 v7, v0, v7, offset:128             // permute edge values
	;; [unrolled: 1-line block ×3, first 2 shown]
s_waitcnt 0                                        // wait for swizzle operation
v_accvgpr_write_b32 acc8, v5                       // 
v_accvgpr_write_b32 acc9, v6                       // 
v_accvgpr_write_b32 acc10, v7                      // 
v_accvgpr_write_b32 acc11, v8                      // 
s_mov_b64 s[10:11], 0xFFFFFFFFFFFFFFFF             // to restore all threads active
s_or_saveexec_b64 vcc, s[10:11]                    // all threads active
s_branch label_0094                                // done shifting


/******************************************/
/* shift d1 r=5 mb=3 vw0                  */
/******************************************/
label_0075: // r5 mb3 vw0 
s_mov_b32 s10, 3                                   // 
_v_cmpx_eq_u32 s[10:11], v4, s10                   // is thread in edge glvw region
v_and_b32 v0, 63, v[vgprSerial]                    // permute register between threads
v_lshlrev_b32 v0, 2, v0                            // permute register between threads
v_accvgpr_read_b32 v5, acc15                       // glvw 5 mb 3 tt1 0 r 0
v_accvgpr_read_b32 v6, acc12                       // glvw 5 mb 3 tt1 0 r 0
v_accvgpr_read_b32 v7, acc13                       // glvw 5 mb 3 tt1 0 r 0
v_accvgpr_read_b32 v8, acc14                       // glvw 5 mb 3 tt1 0 r 0
s_nop 1                                            // v_accvgpr read vgpr after write vgpr: 2 wait states
ds_bpermute_b32 v6, v0, v6, offset:128             // permute edge values
ds_bpermute_b32 v7, v0, v7, offset:128             // permute edge values
	;; [unrolled: 1-line block ×3, first 2 shown]
s_waitcnt 0                                        // wait for swizzle operation
v_accvgpr_write_b32 acc12, v5                      // 
v_accvgpr_write_b32 acc13, v6                      // 
v_accvgpr_write_b32 acc14, v7                      // 
v_accvgpr_write_b32 acc15, v8                      // 
s_mov_b64 s[10:11], 0xFFFFFFFFFFFFFFFF             // to restore all threads active
s_or_saveexec_b64 vcc, s[10:11]                    // all threads active
s_branch label_0094                                // done shifting


/******************************************/
/* shift d1 r=6 mb=0 vw0                  */
/******************************************/
label_0078: // r6 mb0 vw0 
s_mov_b32 s10, 0                                   // 
_v_cmpx_eq_u32 s[10:11], v4, s10                   // is thread in edge glvw region
v_and_b32 v0, 63, v[vgprSerial]                    // permute register between threads
v_lshlrev_b32 v0, 2, v0                            // permute register between threads
v_accvgpr_read_b32 v5, acc2                        // glvw 6 mb 0 tt1 0 r 0
v_accvgpr_read_b32 v6, acc3                        // glvw 6 mb 0 tt1 0 r 0
v_accvgpr_read_b32 v7, acc0                        // glvw 6 mb 0 tt1 0 r 0
v_accvgpr_read_b32 v8, acc1                        // glvw 6 mb 0 tt1 0 r 0
s_nop 1                                            // v_accvgpr read vgpr after write vgpr: 2 wait states
ds_bpermute_b32 v7, v0, v7, offset:128             // permute edge values
ds_bpermute_b32 v8, v0, v8, offset:128             // permute edge values
s_waitcnt 0                                        // wait for swizzle operation
v_accvgpr_write_b32 acc0, v5                       // 
v_accvgpr_write_b32 acc1, v6                       // 
v_accvgpr_write_b32 acc2, v7                       // 
v_accvgpr_write_b32 acc3, v8                       // 
s_mov_b64 s[10:11], 0xFFFFFFFFFFFFFFFF             // to restore all threads active
s_or_saveexec_b64 vcc, s[10:11]                    // all threads active
s_branch label_0094                                // done shifting


/******************************************/
/* shift d1 r=6 mb=1 vw0                  */
/******************************************/
label_0080: // r6 mb1 vw0 
s_mov_b32 s10, 1                                   // 
_v_cmpx_eq_u32 s[10:11], v4, s10                   // is thread in edge glvw region
v_and_b32 v0, 63, v[vgprSerial]                    // permute register between threads
v_lshlrev_b32 v0, 2, v0                            // permute register between threads
v_accvgpr_read_b32 v5, acc6                        // glvw 6 mb 1 tt1 0 r 0
v_accvgpr_read_b32 v6, acc7                        // glvw 6 mb 1 tt1 0 r 0
v_accvgpr_read_b32 v7, acc4                        // glvw 6 mb 1 tt1 0 r 0
v_accvgpr_read_b32 v8, acc5                        // glvw 6 mb 1 tt1 0 r 0
s_nop 1                                            // v_accvgpr read vgpr after write vgpr: 2 wait states
ds_bpermute_b32 v7, v0, v7, offset:128             // permute edge values
ds_bpermute_b32 v8, v0, v8, offset:128             // permute edge values
s_waitcnt 0                                        // wait for swizzle operation
v_accvgpr_write_b32 acc4, v5                       // 
v_accvgpr_write_b32 acc5, v6                       // 
v_accvgpr_write_b32 acc6, v7                       // 
v_accvgpr_write_b32 acc7, v8                       // 
s_mov_b64 s[10:11], 0xFFFFFFFFFFFFFFFF             // to restore all threads active
s_or_saveexec_b64 vcc, s[10:11]                    // all threads active
s_branch label_0094                                // done shifting


/******************************************/
/* shift d1 r=6 mb=2 vw0                  */
/******************************************/
label_0082: // r6 mb2 vw0 
s_mov_b32 s10, 2                                   // 
_v_cmpx_eq_u32 s[10:11], v4, s10                   // is thread in edge glvw region
v_and_b32 v0, 63, v[vgprSerial]                    // permute register between threads
v_lshlrev_b32 v0, 2, v0                            // permute register between threads
v_accvgpr_read_b32 v5, acc10                       // glvw 6 mb 2 tt1 0 r 0
v_accvgpr_read_b32 v6, acc11                       // glvw 6 mb 2 tt1 0 r 0
v_accvgpr_read_b32 v7, acc8                        // glvw 6 mb 2 tt1 0 r 0
v_accvgpr_read_b32 v8, acc9                        // glvw 6 mb 2 tt1 0 r 0
s_nop 1                                            // v_accvgpr read vgpr after write vgpr: 2 wait states
ds_bpermute_b32 v7, v0, v7, offset:128             // permute edge values
ds_bpermute_b32 v8, v0, v8, offset:128             // permute edge values
s_waitcnt 0                                        // wait for swizzle operation
v_accvgpr_write_b32 acc8, v5                       // 
v_accvgpr_write_b32 acc9, v6                       // 
v_accvgpr_write_b32 acc10, v7                      // 
v_accvgpr_write_b32 acc11, v8                      // 
s_mov_b64 s[10:11], 0xFFFFFFFFFFFFFFFF             // to restore all threads active
s_or_saveexec_b64 vcc, s[10:11]                    // all threads active
s_branch label_0094                                // done shifting


/******************************************/
/* shift d1 r=6 mb=3 vw0                  */
/******************************************/
label_0084: // r6 mb3 vw0 
s_mov_b32 s10, 3                                   // 
_v_cmpx_eq_u32 s[10:11], v4, s10                   // is thread in edge glvw region
v_and_b32 v0, 63, v[vgprSerial]                    // permute register between threads
v_lshlrev_b32 v0, 2, v0                            // permute register between threads
v_accvgpr_read_b32 v5, acc14                       // glvw 6 mb 3 tt1 0 r 0
v_accvgpr_read_b32 v6, acc15                       // glvw 6 mb 3 tt1 0 r 0
v_accvgpr_read_b32 v7, acc12                       // glvw 6 mb 3 tt1 0 r 0
v_accvgpr_read_b32 v8, acc13                       // glvw 6 mb 3 tt1 0 r 0
s_nop 1                                            // v_accvgpr read vgpr after write vgpr: 2 wait states
ds_bpermute_b32 v7, v0, v7, offset:128             // permute edge values
ds_bpermute_b32 v8, v0, v8, offset:128             // permute edge values
s_waitcnt 0                                        // wait for swizzle operation
v_accvgpr_write_b32 acc12, v5                      // 
v_accvgpr_write_b32 acc13, v6                      // 
v_accvgpr_write_b32 acc14, v7                      // 
v_accvgpr_write_b32 acc15, v8                      // 
s_mov_b64 s[10:11], 0xFFFFFFFFFFFFFFFF             // to restore all threads active
s_or_saveexec_b64 vcc, s[10:11]                    // all threads active
s_branch label_0094                                // done shifting


/******************************************/
/* shift d1 r=7 mb=0 vw0                  */
/******************************************/
label_0087: // r7 mb0 vw0 
s_mov_b32 s10, 0                                   // 
_v_cmpx_eq_u32 s[10:11], v4, s10                   // is thread in edge glvw region
v_and_b32 v0, 63, v[vgprSerial]                    // permute register between threads
v_lshlrev_b32 v0, 2, v0                            // permute register between threads
v_accvgpr_read_b32 v5, acc1                        // glvw 7 mb 0 tt1 0 r 0
v_accvgpr_read_b32 v6, acc2                        // glvw 7 mb 0 tt1 0 r 0
v_accvgpr_read_b32 v7, acc3                        // glvw 7 mb 0 tt1 0 r 0
v_accvgpr_read_b32 v8, acc0                        // glvw 7 mb 0 tt1 0 r 0
s_nop 1                                            // v_accvgpr read vgpr after write vgpr: 2 wait states
ds_bpermute_b32 v8, v0, v8, offset:128             // permute edge values
s_waitcnt 0                                        // wait for swizzle operation
v_accvgpr_write_b32 acc0, v5                       // 
v_accvgpr_write_b32 acc1, v6                       // 
v_accvgpr_write_b32 acc2, v7                       // 
v_accvgpr_write_b32 acc3, v8                       // 
s_mov_b64 s[10:11], 0xFFFFFFFFFFFFFFFF             // to restore all threads active
s_or_saveexec_b64 vcc, s[10:11]                    // all threads active
s_branch label_0094                                // done shifting


/******************************************/
/* shift d1 r=7 mb=1 vw0                  */
/******************************************/
label_0089: // r7 mb1 vw0 
s_mov_b32 s10, 1                                   // 
_v_cmpx_eq_u32 s[10:11], v4, s10                   // is thread in edge glvw region
v_and_b32 v0, 63, v[vgprSerial]                    // permute register between threads
v_lshlrev_b32 v0, 2, v0                            // permute register between threads
v_accvgpr_read_b32 v5, acc5                        // glvw 7 mb 1 tt1 0 r 0
v_accvgpr_read_b32 v6, acc6                        // glvw 7 mb 1 tt1 0 r 0
v_accvgpr_read_b32 v7, acc7                        // glvw 7 mb 1 tt1 0 r 0
v_accvgpr_read_b32 v8, acc4                        // glvw 7 mb 1 tt1 0 r 0
s_nop 1                                            // v_accvgpr read vgpr after write vgpr: 2 wait states
ds_bpermute_b32 v8, v0, v8, offset:128             // permute edge values
s_waitcnt 0                                        // wait for swizzle operation
v_accvgpr_write_b32 acc4, v5                       // 
v_accvgpr_write_b32 acc5, v6                       // 
v_accvgpr_write_b32 acc6, v7                       // 
v_accvgpr_write_b32 acc7, v8                       // 
s_mov_b64 s[10:11], 0xFFFFFFFFFFFFFFFF             // to restore all threads active
s_or_saveexec_b64 vcc, s[10:11]                    // all threads active
s_branch label_0094                                // done shifting


/******************************************/
/* shift d1 r=7 mb=2 vw0                  */
/******************************************/
label_0091: // r7 mb2 vw0 
s_mov_b32 s10, 2                                   // 
_v_cmpx_eq_u32 s[10:11], v4, s10                   // is thread in edge glvw region
v_and_b32 v0, 63, v[vgprSerial]                    // permute register between threads
v_lshlrev_b32 v0, 2, v0                            // permute register between threads
v_accvgpr_read_b32 v5, acc9                        // glvw 7 mb 2 tt1 0 r 0
v_accvgpr_read_b32 v6, acc10                       // glvw 7 mb 2 tt1 0 r 0
v_accvgpr_read_b32 v7, acc11                       // glvw 7 mb 2 tt1 0 r 0
v_accvgpr_read_b32 v8, acc8                        // glvw 7 mb 2 tt1 0 r 0
s_nop 1                                            // v_accvgpr read vgpr after write vgpr: 2 wait states
ds_bpermute_b32 v8, v0, v8, offset:128             // permute edge values
s_waitcnt 0                                        // wait for swizzle operation
v_accvgpr_write_b32 acc8, v5                       // 
v_accvgpr_write_b32 acc9, v6                       // 
v_accvgpr_write_b32 acc10, v7                      // 
v_accvgpr_write_b32 acc11, v8                      // 
s_mov_b64 s[10:11], 0xFFFFFFFFFFFFFFFF             // to restore all threads active
s_or_saveexec_b64 vcc, s[10:11]                    // all threads active
s_branch label_0094                                // done shifting


/******************************************/
/* shift d1 r=7 mb=3 vw0                  */
/******************************************/
label_0093: // r7 mb3 vw0 
s_mov_b32 s10, 3                                   // 
_v_cmpx_eq_u32 s[10:11], v4, s10                   // is thread in edge glvw region
v_and_b32 v0, 63, v[vgprSerial]                    // permute register between threads
v_lshlrev_b32 v0, 2, v0                            // permute register between threads
v_accvgpr_read_b32 v5, acc13                       // glvw 7 mb 3 tt1 0 r 0
v_accvgpr_read_b32 v6, acc14                       // glvw 7 mb 3 tt1 0 r 0
v_accvgpr_read_b32 v7, acc15                       // glvw 7 mb 3 tt1 0 r 0
v_accvgpr_read_b32 v8, acc12                       // glvw 7 mb 3 tt1 0 r 0
s_nop 1                                            // v_accvgpr read vgpr after write vgpr: 2 wait states
ds_bpermute_b32 v8, v0, v8, offset:128             // permute edge values
s_waitcnt 0                                        // wait for swizzle operation
v_accvgpr_write_b32 acc12, v5                      // 
v_accvgpr_write_b32 acc13, v6                      // 
v_accvgpr_write_b32 acc14, v7                      // 
v_accvgpr_write_b32 acc15, v8                      // 
s_mov_b64 s[10:11], 0xFFFFFFFFFFFFFFFF             // to restore all threads active
s_or_saveexec_b64 vcc, s[10:11]                    // all threads active
s_branch label_0094                                // done shifting

label_0094: // end shift0


	;; [unrolled: 1-line block ×3, first 2 shown]
/* not-LocalSplitU: global write indices */

/* computeStoreVgprs */
v_lshrrev_b32 v4, 6, v[vgprSerial]                 // v4 = v[vgprSerial] / 64
v_and_b32 v1, 63, v[vgprSerial]                    // v1 = v[vgprSerial] % 64
v_lshrrev_b32 v1, 5, v1                            // v1 = v1 / 32
v_lshlrev_b32 v1, 0x2, v1                          // thread0 * continuous_output
v_lshrrev_b32 v5, 0, v4                            // v5 = v4 / 1
v_mul_lo_u32 v5, 0x20, v5                          // wave coordination offset 1
_v_add_lshl_u32 v1, v5, v1, 0                      // coordination 1 = vwb *(wave_id1 + tid1)
v_mul_lo_u32 v2, v1, s[sgprStrideC1J]              //  offset 1
v_mul_lo_u32 v3, v1, s[sgprStrideD1J]              //  offset 1
v_and_b32 v5, 0, v4                                // v5 = v4 % 1
v_and_b32 v0, 31, v[vgprSerial]                    // v0 = v[vgprSerial] % 32
_v_add_lshl_u32 v0, v5, v0, 0                      // coordination 0 = vwa *(wave_id0 + tid0)
s_mul_i32 s10, 32, s[sgprWorkGroup0]               // wgp0 * MT0
_v_add_u32 v0, s10, v0                             // coord 0 = (tid0/MI_m)*4 + waveG0*MIB_m + MT0*SG0
s_mul_i32 s10, 128, s[sgprWorkGroup1]              // wgp1 * MT1
_v_add_u32 v1, s10, v1                             // coord 1 = (tid0%MI_m) + waveG1*MIB_n + MT1*SG1


/* not-LocalSplitU: global write */

s_and_b32 s36, 31, s[sgprSizeI]                    // s36 = s[sgprSizeI] % 32
s_add_u32 s37, -0x1, s[sgprNumWorkGroups0]         // 
s_cmp_ge_u32 s[sgprWorkGroup0], s37                // wg0 >= nwg0-1 ?
s_cselect_b32 s36, s36, 0                          // set rMT0
s_cmpk_gt_u32 s36, 0x0                             // rMT0 > 0
s_cbranch_scc1 GW_B0_E1_108                        // jump if edges required
s_and_b32 s36, 127, s[sgprSizeJ]                   // s36 = s[sgprSizeJ] % 128
s_add_u32 s37, -0x1, s[sgprNumWorkGroups1]         // 
s_cmp_ge_u32 s[sgprWorkGroup1], s37                // wg1 >= nwg1-1
s_cselect_b32 s36, s36, 0                          // set rMT1
s_cmpk_gt_u32 s36, 0x0                             // rMT1 > 0
s_cbranch_scc1 GW_B0_E1_108                        // jump if edges required
GW_B0_E0_105:

/* edge=0, allocate 2 sgpr. perBatchTmpS=2 perBatchMaskS=0 perElementMaskS=0 elementsPerBatch=2 */
/* optSingleColVgpr=1 optSharedColVgpr=0 optSGPRUsage=BufferLoad_Mask optSrdIncForRow=1 */

/******************************************/
/* Global Write Alpha Batch #0 (d1,d0,vc1,vc0) = */
/*    (0,0,0,0:vw1); (0,0,1,0:vw1)        */
/******************************************/

/* calc coords, apply mask, and issue loads (if necessary) */
/* (d1,vc1,d0,vc0)=(0,0,0,0) */
/* (d1,vc1,d0,vc0)=(0,1,0,0) */
_v_add_lshl_u32 v6, v3, v0, 0x2                    // optSingleColVgpr scaleToBpe: sharedAddrVgpr <- cinRowPtr + coord0, scaled by BPE. BSHERE:coord0=0, coord0Vgpr=0
v_accvgpr_read_b32 v[vgprValuC+8], acc0 // copy acc to vreg[0]
v_accvgpr_read_b32 v[vgprValuC+9], acc1 // copy acc to vreg[1]
s_nop 1                                            // 2 wait states required before reading vgpr

/* rC *= alpha batchElements=[(0, 0, 0, 0), (0, 0, 1, 0)] */

/* apply mask, calc new C and issue writes */
_buffer_store_b32 v8, v6, s[sgprSrdD:sgprSrdD+3], 0, offen, offset:0 // store D
s_lshl_b32  s10, s[sgprStrideD1J], 2               // incToNextRow: Scale by BPE
s_add_u32  s[sgprSrdD+0], s[sgprSrdD+0], s10       // incToNextRow: gra SRD += inc(lower)
s_addc_u32  s[sgprSrdD+1], s[sgprSrdD+1], 0        // incToNextRow: gra SRD += inc(upper)
_buffer_store_b32 v9, v6, s[sgprSrdD:sgprSrdD+3], 0, offen, offset:0 // store D
s_nop 0                                            // 1 wait state required when next inst writes vgprs held by previous dwordx4 store inst
/* optSingleColVgpr=1 optSharedColVgpr=0 optSGPRUsage=BufferLoad_Mask optSrdIncForRow=1 */

/******************************************/
/* Global Write Alpha Batch #1 (d1,d0,vc1,vc0) = */
/*    (0,0,2,0:vw1); (0,0,3,0:vw1)        */
/******************************************/

/* calc coords, apply mask, and issue loads (if necessary) */
/* (d1,vc1,d0,vc0)=(0,2,0,0) */
/* (d1,vc1,d0,vc0)=(0,3,0,0) */
v_accvgpr_read_b32 v[vgprValuC+8], acc2 // copy acc to vreg[2]
v_accvgpr_read_b32 v[vgprValuC+9], acc3 // copy acc to vreg[3]
s_nop 1                                            // 2 wait states required before reading vgpr

/* rC *= alpha batchElements=[(0, 0, 2, 0), (0, 0, 3, 0)] */

/* apply mask, calc new C and issue writes */
s_lshl_b32  s10, s[sgprStrideD1J], 2               // incToNextRow: Scale by BPE
s_add_u32  s[sgprSrdD+0], s[sgprSrdD+0], s10       // incToNextRow: gra SRD += inc(lower)
s_addc_u32  s[sgprSrdD+1], s[sgprSrdD+1], 0        // incToNextRow: gra SRD += inc(upper)
_buffer_store_b32 v8, v6, s[sgprSrdD:sgprSrdD+3], 0, offen, offset:0 // store D
s_lshl_b32  s10, s[sgprStrideD1J], 2               // incToNextRow: Scale by BPE
s_add_u32  s[sgprSrdD+0], s[sgprSrdD+0], s10       // incToNextRow: gra SRD += inc(lower)
s_addc_u32  s[sgprSrdD+1], s[sgprSrdD+1], 0        // incToNextRow: gra SRD += inc(upper)
_buffer_store_b32 v9, v6, s[sgprSrdD:sgprSrdD+3], 0, offen, offset:0 // store D
s_nop 0                                            // 1 wait state required when next inst writes vgprs held by previous dwordx4 store inst
/* optSingleColVgpr=1 optSharedColVgpr=0 optSGPRUsage=BufferLoad_Mask optSrdIncForRow=1 */

/******************************************/
/* Global Write Alpha Batch #2 (d1,d0,vc1,vc0) = */
/*    (1,0,0,0:vw1); (1,0,1,0:vw1)        */
/******************************************/

/* calc coords, apply mask, and issue loads (if necessary) */
/* (d1,vc1,d0,vc0)=(1,0,0,0) */
/* (d1,vc1,d0,vc0)=(1,1,0,0) */
v_accvgpr_read_b32 v[vgprValuC+8], acc4 // copy acc to vreg[4]
v_accvgpr_read_b32 v[vgprValuC+9], acc5 // copy acc to vreg[5]
s_nop 1                                            // 2 wait states required before reading vgpr

/* rC *= alpha batchElements=[(1, 0, 0, 0), (1, 0, 1, 0)] */

/* apply mask, calc new C and issue writes */
s_mul_i32 s10, s[sgprStrideD1J], 20                // scale StrideD *= numRows(5) * bpe
s_add_u32  s[sgprSrdD+0], s[sgprSrdD+0], s10       // incToNextRow: gra SRD += inc(lower)
s_addc_u32  s[sgprSrdD+1], s[sgprSrdD+1], 0        // incToNextRow: gra SRD += inc(upper)
_buffer_store_b32 v8, v6, s[sgprSrdD:sgprSrdD+3], 0, offen, offset:0 // store D
s_lshl_b32  s10, s[sgprStrideD1J], 2               // incToNextRow: Scale by BPE
s_add_u32  s[sgprSrdD+0], s[sgprSrdD+0], s10       // incToNextRow: gra SRD += inc(lower)
s_addc_u32  s[sgprSrdD+1], s[sgprSrdD+1], 0        // incToNextRow: gra SRD += inc(upper)
_buffer_store_b32 v9, v6, s[sgprSrdD:sgprSrdD+3], 0, offen, offset:0 // store D
s_nop 0                                            // 1 wait state required when next inst writes vgprs held by previous dwordx4 store inst
/* optSingleColVgpr=1 optSharedColVgpr=0 optSGPRUsage=BufferLoad_Mask optSrdIncForRow=1 */

/******************************************/
/* Global Write Alpha Batch #3 (d1,d0,vc1,vc0) = */
/*    (1,0,2,0:vw1); (1,0,3,0:vw1)        */
/******************************************/

/* calc coords, apply mask, and issue loads (if necessary) */
/* (d1,vc1,d0,vc0)=(1,2,0,0) */
/* (d1,vc1,d0,vc0)=(1,3,0,0) */
v_accvgpr_read_b32 v[vgprValuC+8], acc6 // copy acc to vreg[6]
v_accvgpr_read_b32 v[vgprValuC+9], acc7 // copy acc to vreg[7]
s_nop 1                                            // 2 wait states required before reading vgpr

/* rC *= alpha batchElements=[(1, 0, 2, 0), (1, 0, 3, 0)] */

/* apply mask, calc new C and issue writes */
s_lshl_b32  s10, s[sgprStrideD1J], 2               // incToNextRow: Scale by BPE
s_add_u32  s[sgprSrdD+0], s[sgprSrdD+0], s10       // incToNextRow: gra SRD += inc(lower)
s_addc_u32  s[sgprSrdD+1], s[sgprSrdD+1], 0        // incToNextRow: gra SRD += inc(upper)
_buffer_store_b32 v8, v6, s[sgprSrdD:sgprSrdD+3], 0, offen, offset:0 // store D
s_lshl_b32  s10, s[sgprStrideD1J], 2               // incToNextRow: Scale by BPE
s_add_u32  s[sgprSrdD+0], s[sgprSrdD+0], s10       // incToNextRow: gra SRD += inc(lower)
s_addc_u32  s[sgprSrdD+1], s[sgprSrdD+1], 0        // incToNextRow: gra SRD += inc(upper)
_buffer_store_b32 v9, v6, s[sgprSrdD:sgprSrdD+3], 0, offen, offset:0 // store D
s_nop 0                                            // 1 wait state required when next inst writes vgprs held by previous dwordx4 store inst
/* optSingleColVgpr=1 optSharedColVgpr=0 optSGPRUsage=BufferLoad_Mask optSrdIncForRow=1 */

/******************************************/
/* Global Write Alpha Batch #4 (d1,d0,vc1,vc0) = */
/*    (2,0,0,0:vw1); (2,0,1,0:vw1)        */
/******************************************/

/* calc coords, apply mask, and issue loads (if necessary) */
/* (d1,vc1,d0,vc0)=(2,0,0,0) */
/* (d1,vc1,d0,vc0)=(2,1,0,0) */
v_accvgpr_read_b32 v[vgprValuC+8], acc8 // copy acc to vreg[8]
v_accvgpr_read_b32 v[vgprValuC+9], acc9 // copy acc to vreg[9]
s_nop 1                                            // 2 wait states required before reading vgpr

/* rC *= alpha batchElements=[(2, 0, 0, 0), (2, 0, 1, 0)] */

/* apply mask, calc new C and issue writes */
s_mul_i32 s10, s[sgprStrideD1J], 20                // scale StrideD *= numRows(5) * bpe
s_add_u32  s[sgprSrdD+0], s[sgprSrdD+0], s10       // incToNextRow: gra SRD += inc(lower)
s_addc_u32  s[sgprSrdD+1], s[sgprSrdD+1], 0        // incToNextRow: gra SRD += inc(upper)
_buffer_store_b32 v8, v6, s[sgprSrdD:sgprSrdD+3], 0, offen, offset:0 // store D
s_lshl_b32  s10, s[sgprStrideD1J], 2               // incToNextRow: Scale by BPE
s_add_u32  s[sgprSrdD+0], s[sgprSrdD+0], s10       // incToNextRow: gra SRD += inc(lower)
s_addc_u32  s[sgprSrdD+1], s[sgprSrdD+1], 0        // incToNextRow: gra SRD += inc(upper)
_buffer_store_b32 v9, v6, s[sgprSrdD:sgprSrdD+3], 0, offen, offset:0 // store D
s_nop 0                                            // 1 wait state required when next inst writes vgprs held by previous dwordx4 store inst
/* optSingleColVgpr=1 optSharedColVgpr=0 optSGPRUsage=BufferLoad_Mask optSrdIncForRow=1 */

/******************************************/
/* Global Write Alpha Batch #5 (d1,d0,vc1,vc0) = */
/*    (2,0,2,0:vw1); (2,0,3,0:vw1)        */
/******************************************/

/* calc coords, apply mask, and issue loads (if necessary) */
/* (d1,vc1,d0,vc0)=(2,2,0,0) */
/* (d1,vc1,d0,vc0)=(2,3,0,0) */
v_accvgpr_read_b32 v[vgprValuC+8], acc10 // copy acc to vreg[10]
v_accvgpr_read_b32 v[vgprValuC+9], acc11 // copy acc to vreg[11]
s_nop 1                                            // 2 wait states required before reading vgpr

/* rC *= alpha batchElements=[(2, 0, 2, 0), (2, 0, 3, 0)] */

/* apply mask, calc new C and issue writes */
s_lshl_b32  s10, s[sgprStrideD1J], 2               // incToNextRow: Scale by BPE
s_add_u32  s[sgprSrdD+0], s[sgprSrdD+0], s10       // incToNextRow: gra SRD += inc(lower)
s_addc_u32  s[sgprSrdD+1], s[sgprSrdD+1], 0        // incToNextRow: gra SRD += inc(upper)
_buffer_store_b32 v8, v6, s[sgprSrdD:sgprSrdD+3], 0, offen, offset:0 // store D
s_lshl_b32  s10, s[sgprStrideD1J], 2               // incToNextRow: Scale by BPE
s_add_u32  s[sgprSrdD+0], s[sgprSrdD+0], s10       // incToNextRow: gra SRD += inc(lower)
s_addc_u32  s[sgprSrdD+1], s[sgprSrdD+1], 0        // incToNextRow: gra SRD += inc(upper)
_buffer_store_b32 v9, v6, s[sgprSrdD:sgprSrdD+3], 0, offen, offset:0 // store D
s_nop 0                                            // 1 wait state required when next inst writes vgprs held by previous dwordx4 store inst
/* optSingleColVgpr=1 optSharedColVgpr=0 optSGPRUsage=BufferLoad_Mask optSrdIncForRow=1 */

/******************************************/
/* Global Write Alpha Batch #6 (d1,d0,vc1,vc0) = */
/*    (3,0,0,0:vw1); (3,0,1,0:vw1)        */
/******************************************/

/* calc coords, apply mask, and issue loads (if necessary) */
/* (d1,vc1,d0,vc0)=(3,0,0,0) */
/* (d1,vc1,d0,vc0)=(3,1,0,0) */
v_accvgpr_read_b32 v[vgprValuC+8], acc12 // copy acc to vreg[12]
v_accvgpr_read_b32 v[vgprValuC+9], acc13 // copy acc to vreg[13]
s_nop 1                                            // 2 wait states required before reading vgpr

/* rC *= alpha batchElements=[(3, 0, 0, 0), (3, 0, 1, 0)] */

/* apply mask, calc new C and issue writes */
s_mul_i32 s10, s[sgprStrideD1J], 20                // scale StrideD *= numRows(5) * bpe
s_add_u32  s[sgprSrdD+0], s[sgprSrdD+0], s10       // incToNextRow: gra SRD += inc(lower)
s_addc_u32  s[sgprSrdD+1], s[sgprSrdD+1], 0        // incToNextRow: gra SRD += inc(upper)
_buffer_store_b32 v8, v6, s[sgprSrdD:sgprSrdD+3], 0, offen, offset:0 // store D
s_lshl_b32  s10, s[sgprStrideD1J], 2               // incToNextRow: Scale by BPE
s_add_u32  s[sgprSrdD+0], s[sgprSrdD+0], s10       // incToNextRow: gra SRD += inc(lower)
s_addc_u32  s[sgprSrdD+1], s[sgprSrdD+1], 0        // incToNextRow: gra SRD += inc(upper)
_buffer_store_b32 v9, v6, s[sgprSrdD:sgprSrdD+3], 0, offen, offset:0 // store D
s_nop 0                                            // 1 wait state required when next inst writes vgprs held by previous dwordx4 store inst
/* optSingleColVgpr=1 optSharedColVgpr=0 optSGPRUsage=BufferLoad_Mask optSrdIncForRow=1 */

/******************************************/
/* Global Write Alpha Batch #7 (d1,d0,vc1,vc0) = */
/*    (3,0,2,0:vw1); (3,0,3,0:vw1)        */
/******************************************/

/* calc coords, apply mask, and issue loads (if necessary) */
/* (d1,vc1,d0,vc0)=(3,2,0,0) */
/* (d1,vc1,d0,vc0)=(3,3,0,0) */
v_accvgpr_read_b32 v[vgprValuC+8], acc14 // copy acc to vreg[14]
v_accvgpr_read_b32 v[vgprValuC+9], acc15 // copy acc to vreg[15]
s_nop 1                                            // 2 wait states required before reading vgpr

/* rC *= alpha batchElements=[(3, 0, 2, 0), (3, 0, 3, 0)] */

/* apply mask, calc new C and issue writes */
s_lshl_b32  s10, s[sgprStrideD1J], 2               // incToNextRow: Scale by BPE
s_add_u32  s[sgprSrdD+0], s[sgprSrdD+0], s10       // incToNextRow: gra SRD += inc(lower)
s_addc_u32  s[sgprSrdD+1], s[sgprSrdD+1], 0        // incToNextRow: gra SRD += inc(upper)
_buffer_store_b32 v8, v6, s[sgprSrdD:sgprSrdD+3], 0, offen, offset:0 // store D
s_lshl_b32  s10, s[sgprStrideD1J], 2               // incToNextRow: Scale by BPE
s_add_u32  s[sgprSrdD+0], s[sgprSrdD+0], s10       // incToNextRow: gra SRD += inc(lower)
s_addc_u32  s[sgprSrdD+1], s[sgprSrdD+1], 0        // incToNextRow: gra SRD += inc(upper)
_buffer_store_b32 v9, v6, s[sgprSrdD:sgprSrdD+3], 0, offen, offset:0 // store D
s_nop 0                                            // 1 wait state required when next inst writes vgprs held by previous dwordx4 store inst
s_branch label_GW_End_110                          // jump to end
GW_B0_E1_108:

/* edge=1, allocate 6 sgpr. perBatchTmpS=4 perBatchMaskS=2 perElementMaskS=0 elementsPerBatch=2 */
/* optSingleColVgpr=0 optSharedColVgpr=0 optSGPRUsage=BufferLoad_Edge_Mask optSrdIncForRow=0 */

/******************************************/
/* Global Write Alpha Edge Batch #0 (d1,d0,vc1,vc0) = */
/*    (0,0,0,0:vw1); (0,0,1,0:vw1)        */
/******************************************/

/* calc coords, apply mask, and issue loads (if necessary) */
/* (d1,vc1,d0,vc0)=(0,0,0,0) */
v_cmp_lt_u32 s[56:57], v0, s[sgprSizeI]            // coord0 < size0
v_cmp_lt_u32 s[60:61], v1, s[sgprSizeJ]            // coord1 < size1
s_and_b64 s[60:61], s[56:57], s[60:61]             // in0 && in1
_v_add_lshl_u32 v6, v3, v0, 0x2                    // scaleToBpe: accumulate d0 lower and *= bpe into Cin addr
v_cndmask_b32 v6, -1, v6, s[60:61]                 // LDD clip if OOB. offset
/* (d1,vc1,d0,vc0)=(0,1,0,0) */
_v_add_co_u32 v1, vcc, v1, 1                       // coord1.1: coord1Vgpr += d1*sg1*VW + vc1

/* Fix for UseInitialStridesCD, emitAddressSetupCode */
_v_add_u32 v2, v2, s[sgprStrideC1J]                // ROWINC- Move cinRowPtr to next row
_v_add_u32 v3, v3, s[sgprStrideD1J]                // Move coutRowPtr to next row
v_cmp_lt_u32 s[56:57], v0, s[sgprSizeI]            // coord0 < size0
v_cmp_lt_u32 s[60:61], v1, s[sgprSizeJ]            // coord1 < size1
s_and_b64 s[60:61], s[56:57], s[60:61]             // in0 && in1
_v_add_lshl_u32 v8, v3, v0, 0x2                    // scaleToBpe: accumulate d0 lower and *= bpe into Cin addr
v_cndmask_b32 v8, -1, v8, s[60:61]                 // LDD clip if OOB. offset
v_accvgpr_read_b32 v[vgprValuC+7], acc0 // copy acc to vreg[0]
v_accvgpr_read_b32 v[vgprValuC+9], acc1 // copy acc to vreg[1]
s_nop 1                                            // 2 wait states required before reading vgpr

/* rC *= alpha batchElements=[(0, 0, 0, 0), (0, 0, 1, 0)] */

/* apply mask, calc new C and issue writes */
_buffer_store_b32 v7, v6, s[sgprSrdD:sgprSrdD+3], 0, offen, offset:0 // store D
_buffer_store_b32 v9, v8, s[sgprSrdD:sgprSrdD+3], 0, offen, offset:0 // store D
s_nop 0                                            // 1 wait state required when next inst writes vgprs held by previous dwordx4 store inst
/* optSingleColVgpr=0 optSharedColVgpr=0 optSGPRUsage=BufferLoad_Edge_Mask optSrdIncForRow=0 */

/******************************************/
/* Global Write Alpha Edge Batch #1 (d1,d0,vc1,vc0) = */
/*    (0,0,2,0:vw1); (0,0,3,0:vw1)        */
/******************************************/

/* calc coords, apply mask, and issue loads (if necessary) */
/* (d1,vc1,d0,vc0)=(0,2,0,0) */
_v_add_co_u32 v1, vcc, v1, 1                       // coord1.1: coord1Vgpr += d1*sg1*VW + vc1

/* Fix for UseInitialStridesCD, emitAddressSetupCode */
_v_add_u32 v2, v2, s[sgprStrideC1J]                // ROWINC- Move cinRowPtr to next row
_v_add_u32 v3, v3, s[sgprStrideD1J]                // Move coutRowPtr to next row
v_cmp_lt_u32 s[56:57], v0, s[sgprSizeI]            // coord0 < size0
v_cmp_lt_u32 s[60:61], v1, s[sgprSizeJ]            // coord1 < size1
s_and_b64 s[60:61], s[56:57], s[60:61]             // in0 && in1
_v_add_lshl_u32 v6, v3, v0, 0x2                    // scaleToBpe: accumulate d0 lower and *= bpe into Cin addr
v_cndmask_b32 v6, -1, v6, s[60:61]                 // LDD clip if OOB. offset
/* (d1,vc1,d0,vc0)=(0,3,0,0) */
_v_add_co_u32 v1, vcc, v1, 1                       // coord1.1: coord1Vgpr += d1*sg1*VW + vc1

/* Fix for UseInitialStridesCD, emitAddressSetupCode */
_v_add_u32 v2, v2, s[sgprStrideC1J]                // ROWINC- Move cinRowPtr to next row
_v_add_u32 v3, v3, s[sgprStrideD1J]                // Move coutRowPtr to next row
v_cmp_lt_u32 s[56:57], v0, s[sgprSizeI]            // coord0 < size0
v_cmp_lt_u32 s[60:61], v1, s[sgprSizeJ]            // coord1 < size1
s_and_b64 s[60:61], s[56:57], s[60:61]             // in0 && in1
_v_add_lshl_u32 v8, v3, v0, 0x2                    // scaleToBpe: accumulate d0 lower and *= bpe into Cin addr
v_cndmask_b32 v8, -1, v8, s[60:61]                 // LDD clip if OOB. offset
v_accvgpr_read_b32 v[vgprValuC+7], acc2 // copy acc to vreg[2]
v_accvgpr_read_b32 v[vgprValuC+9], acc3 // copy acc to vreg[3]
s_nop 1                                            // 2 wait states required before reading vgpr

/* rC *= alpha batchElements=[(0, 0, 2, 0), (0, 0, 3, 0)] */

/* apply mask, calc new C and issue writes */
_buffer_store_b32 v7, v6, s[sgprSrdD:sgprSrdD+3], 0, offen, offset:0 // store D
_buffer_store_b32 v9, v8, s[sgprSrdD:sgprSrdD+3], 0, offen, offset:0 // store D
s_nop 0                                            // 1 wait state required when next inst writes vgprs held by previous dwordx4 store inst
/* optSingleColVgpr=0 optSharedColVgpr=0 optSGPRUsage=BufferLoad_Edge_Mask optSrdIncForRow=0 */

/******************************************/
/* Global Write Alpha Edge Batch #2 (d1,d0,vc1,vc0) = */
/*    (1,0,0,0:vw1); (1,0,1,0:vw1)        */
/******************************************/

/* calc coords, apply mask, and issue loads (if necessary) */
/* (d1,vc1,d0,vc0)=(1,0,0,0) */
_v_add_co_u32 v1, vcc, v1, 5                       // coord1.1: coord1Vgpr += d1*sg1*VW + vc1

/* Fix for UseInitialStridesCD, emitAddressSetupCode */
s_mul_i32 s56, s[sgprStrideC1J], 5                 // scale stride
_v_add_u32 v2, v2, s56                             // ROWINC- Move cinRowPtr to next row
s_mul_i32 s56, s[sgprStrideD1J], 5                 // scale stride
_v_add_u32 v3, v3, s56                             // Move coutRowPtr to next row
v_cmp_lt_u32 s[56:57], v0, s[sgprSizeI]            // coord0 < size0
v_cmp_lt_u32 s[60:61], v1, s[sgprSizeJ]            // coord1 < size1
s_and_b64 s[60:61], s[56:57], s[60:61]             // in0 && in1
_v_add_lshl_u32 v6, v3, v0, 0x2                    // scaleToBpe: accumulate d0 lower and *= bpe into Cin addr
v_cndmask_b32 v6, -1, v6, s[60:61]                 // LDD clip if OOB. offset
/* (d1,vc1,d0,vc0)=(1,1,0,0) */
_v_add_co_u32 v1, vcc, v1, 1                       // coord1.1: coord1Vgpr += d1*sg1*VW + vc1

/* Fix for UseInitialStridesCD, emitAddressSetupCode */
_v_add_u32 v2, v2, s[sgprStrideC1J]                // ROWINC- Move cinRowPtr to next row
_v_add_u32 v3, v3, s[sgprStrideD1J]                // Move coutRowPtr to next row
v_cmp_lt_u32 s[56:57], v0, s[sgprSizeI]            // coord0 < size0
v_cmp_lt_u32 s[60:61], v1, s[sgprSizeJ]            // coord1 < size1
s_and_b64 s[60:61], s[56:57], s[60:61]             // in0 && in1
_v_add_lshl_u32 v8, v3, v0, 0x2                    // scaleToBpe: accumulate d0 lower and *= bpe into Cin addr
v_cndmask_b32 v8, -1, v8, s[60:61]                 // LDD clip if OOB. offset
v_accvgpr_read_b32 v[vgprValuC+7], acc4 // copy acc to vreg[4]
v_accvgpr_read_b32 v[vgprValuC+9], acc5 // copy acc to vreg[5]
s_nop 1                                            // 2 wait states required before reading vgpr

/* rC *= alpha batchElements=[(1, 0, 0, 0), (1, 0, 1, 0)] */

/* apply mask, calc new C and issue writes */
_buffer_store_b32 v7, v6, s[sgprSrdD:sgprSrdD+3], 0, offen, offset:0 // store D
_buffer_store_b32 v9, v8, s[sgprSrdD:sgprSrdD+3], 0, offen, offset:0 // store D
s_nop 0                                            // 1 wait state required when next inst writes vgprs held by previous dwordx4 store inst
/* optSingleColVgpr=0 optSharedColVgpr=0 optSGPRUsage=BufferLoad_Edge_Mask optSrdIncForRow=0 */

/******************************************/
/* Global Write Alpha Edge Batch #3 (d1,d0,vc1,vc0) = */
/*    (1,0,2,0:vw1); (1,0,3,0:vw1)        */
/******************************************/

/* calc coords, apply mask, and issue loads (if necessary) */
/* (d1,vc1,d0,vc0)=(1,2,0,0) */
_v_add_co_u32 v1, vcc, v1, 1                       // coord1.1: coord1Vgpr += d1*sg1*VW + vc1

/* Fix for UseInitialStridesCD, emitAddressSetupCode */
_v_add_u32 v2, v2, s[sgprStrideC1J]                // ROWINC- Move cinRowPtr to next row
_v_add_u32 v3, v3, s[sgprStrideD1J]                // Move coutRowPtr to next row
v_cmp_lt_u32 s[56:57], v0, s[sgprSizeI]            // coord0 < size0
v_cmp_lt_u32 s[60:61], v1, s[sgprSizeJ]            // coord1 < size1
s_and_b64 s[60:61], s[56:57], s[60:61]             // in0 && in1
_v_add_lshl_u32 v6, v3, v0, 0x2                    // scaleToBpe: accumulate d0 lower and *= bpe into Cin addr
v_cndmask_b32 v6, -1, v6, s[60:61]                 // LDD clip if OOB. offset
/* (d1,vc1,d0,vc0)=(1,3,0,0) */
_v_add_co_u32 v1, vcc, v1, 1                       // coord1.1: coord1Vgpr += d1*sg1*VW + vc1

/* Fix for UseInitialStridesCD, emitAddressSetupCode */
_v_add_u32 v2, v2, s[sgprStrideC1J]                // ROWINC- Move cinRowPtr to next row
_v_add_u32 v3, v3, s[sgprStrideD1J]                // Move coutRowPtr to next row
v_cmp_lt_u32 s[56:57], v0, s[sgprSizeI]            // coord0 < size0
v_cmp_lt_u32 s[60:61], v1, s[sgprSizeJ]            // coord1 < size1
s_and_b64 s[60:61], s[56:57], s[60:61]             // in0 && in1
_v_add_lshl_u32 v8, v3, v0, 0x2                    // scaleToBpe: accumulate d0 lower and *= bpe into Cin addr
v_cndmask_b32 v8, -1, v8, s[60:61]                 // LDD clip if OOB. offset
v_accvgpr_read_b32 v[vgprValuC+7], acc6 // copy acc to vreg[6]
v_accvgpr_read_b32 v[vgprValuC+9], acc7 // copy acc to vreg[7]
s_nop 1                                            // 2 wait states required before reading vgpr

/* rC *= alpha batchElements=[(1, 0, 2, 0), (1, 0, 3, 0)] */

/* apply mask, calc new C and issue writes */
_buffer_store_b32 v7, v6, s[sgprSrdD:sgprSrdD+3], 0, offen, offset:0 // store D
_buffer_store_b32 v9, v8, s[sgprSrdD:sgprSrdD+3], 0, offen, offset:0 // store D
s_nop 0                                            // 1 wait state required when next inst writes vgprs held by previous dwordx4 store inst
/* optSingleColVgpr=0 optSharedColVgpr=0 optSGPRUsage=BufferLoad_Edge_Mask optSrdIncForRow=0 */

/******************************************/
/* Global Write Alpha Edge Batch #4 (d1,d0,vc1,vc0) = */
/*    (2,0,0,0:vw1); (2,0,1,0:vw1)        */
/******************************************/

/* calc coords, apply mask, and issue loads (if necessary) */
/* (d1,vc1,d0,vc0)=(2,0,0,0) */
_v_add_co_u32 v1, vcc, v1, 5                       // coord1.1: coord1Vgpr += d1*sg1*VW + vc1

/* Fix for UseInitialStridesCD, emitAddressSetupCode */
s_mul_i32 s56, s[sgprStrideC1J], 5                 // scale stride
_v_add_u32 v2, v2, s56                             // ROWINC- Move cinRowPtr to next row
s_mul_i32 s56, s[sgprStrideD1J], 5                 // scale stride
_v_add_u32 v3, v3, s56                             // Move coutRowPtr to next row
v_cmp_lt_u32 s[56:57], v0, s[sgprSizeI]            // coord0 < size0
v_cmp_lt_u32 s[60:61], v1, s[sgprSizeJ]            // coord1 < size1
s_and_b64 s[60:61], s[56:57], s[60:61]             // in0 && in1
_v_add_lshl_u32 v6, v3, v0, 0x2                    // scaleToBpe: accumulate d0 lower and *= bpe into Cin addr
v_cndmask_b32 v6, -1, v6, s[60:61]                 // LDD clip if OOB. offset
/* (d1,vc1,d0,vc0)=(2,1,0,0) */
_v_add_co_u32 v1, vcc, v1, 1                       // coord1.1: coord1Vgpr += d1*sg1*VW + vc1

/* Fix for UseInitialStridesCD, emitAddressSetupCode */
_v_add_u32 v2, v2, s[sgprStrideC1J]                // ROWINC- Move cinRowPtr to next row
_v_add_u32 v3, v3, s[sgprStrideD1J]                // Move coutRowPtr to next row
v_cmp_lt_u32 s[56:57], v0, s[sgprSizeI]            // coord0 < size0
v_cmp_lt_u32 s[60:61], v1, s[sgprSizeJ]            // coord1 < size1
s_and_b64 s[60:61], s[56:57], s[60:61]             // in0 && in1
_v_add_lshl_u32 v8, v3, v0, 0x2                    // scaleToBpe: accumulate d0 lower and *= bpe into Cin addr
v_cndmask_b32 v8, -1, v8, s[60:61]                 // LDD clip if OOB. offset
v_accvgpr_read_b32 v[vgprValuC+7], acc8 // copy acc to vreg[8]
v_accvgpr_read_b32 v[vgprValuC+9], acc9 // copy acc to vreg[9]
s_nop 1                                            // 2 wait states required before reading vgpr

/* rC *= alpha batchElements=[(2, 0, 0, 0), (2, 0, 1, 0)] */

/* apply mask, calc new C and issue writes */
_buffer_store_b32 v7, v6, s[sgprSrdD:sgprSrdD+3], 0, offen, offset:0 // store D
_buffer_store_b32 v9, v8, s[sgprSrdD:sgprSrdD+3], 0, offen, offset:0 // store D
s_nop 0                                            // 1 wait state required when next inst writes vgprs held by previous dwordx4 store inst
/* optSingleColVgpr=0 optSharedColVgpr=0 optSGPRUsage=BufferLoad_Edge_Mask optSrdIncForRow=0 */

/******************************************/
/* Global Write Alpha Edge Batch #5 (d1,d0,vc1,vc0) = */
/*    (2,0,2,0:vw1); (2,0,3,0:vw1)        */
/******************************************/

/* calc coords, apply mask, and issue loads (if necessary) */
/* (d1,vc1,d0,vc0)=(2,2,0,0) */
_v_add_co_u32 v1, vcc, v1, 1                       // coord1.1: coord1Vgpr += d1*sg1*VW + vc1

/* Fix for UseInitialStridesCD, emitAddressSetupCode */
_v_add_u32 v2, v2, s[sgprStrideC1J]                // ROWINC- Move cinRowPtr to next row
_v_add_u32 v3, v3, s[sgprStrideD1J]                // Move coutRowPtr to next row
v_cmp_lt_u32 s[56:57], v0, s[sgprSizeI]            // coord0 < size0
v_cmp_lt_u32 s[60:61], v1, s[sgprSizeJ]            // coord1 < size1
s_and_b64 s[60:61], s[56:57], s[60:61]             // in0 && in1
_v_add_lshl_u32 v6, v3, v0, 0x2                    // scaleToBpe: accumulate d0 lower and *= bpe into Cin addr
v_cndmask_b32 v6, -1, v6, s[60:61]                 // LDD clip if OOB. offset
/* (d1,vc1,d0,vc0)=(2,3,0,0) */
_v_add_co_u32 v1, vcc, v1, 1                       // coord1.1: coord1Vgpr += d1*sg1*VW + vc1

/* Fix for UseInitialStridesCD, emitAddressSetupCode */
_v_add_u32 v2, v2, s[sgprStrideC1J]                // ROWINC- Move cinRowPtr to next row
_v_add_u32 v3, v3, s[sgprStrideD1J]                // Move coutRowPtr to next row
v_cmp_lt_u32 s[56:57], v0, s[sgprSizeI]            // coord0 < size0
v_cmp_lt_u32 s[60:61], v1, s[sgprSizeJ]            // coord1 < size1
s_and_b64 s[60:61], s[56:57], s[60:61]             // in0 && in1
_v_add_lshl_u32 v8, v3, v0, 0x2                    // scaleToBpe: accumulate d0 lower and *= bpe into Cin addr
v_cndmask_b32 v8, -1, v8, s[60:61]                 // LDD clip if OOB. offset
v_accvgpr_read_b32 v[vgprValuC+7], acc10 // copy acc to vreg[10]
v_accvgpr_read_b32 v[vgprValuC+9], acc11 // copy acc to vreg[11]
s_nop 1                                            // 2 wait states required before reading vgpr

/* rC *= alpha batchElements=[(2, 0, 2, 0), (2, 0, 3, 0)] */

/* apply mask, calc new C and issue writes */
_buffer_store_b32 v7, v6, s[sgprSrdD:sgprSrdD+3], 0, offen, offset:0 // store D
_buffer_store_b32 v9, v8, s[sgprSrdD:sgprSrdD+3], 0, offen, offset:0 // store D
s_nop 0                                            // 1 wait state required when next inst writes vgprs held by previous dwordx4 store inst
/* optSingleColVgpr=0 optSharedColVgpr=0 optSGPRUsage=BufferLoad_Edge_Mask optSrdIncForRow=0 */

/******************************************/
/* Global Write Alpha Edge Batch #6 (d1,d0,vc1,vc0) = */
/*    (3,0,0,0:vw1); (3,0,1,0:vw1)        */
/******************************************/

/* calc coords, apply mask, and issue loads (if necessary) */
/* (d1,vc1,d0,vc0)=(3,0,0,0) */
_v_add_co_u32 v1, vcc, v1, 5                       // coord1.1: coord1Vgpr += d1*sg1*VW + vc1

/* Fix for UseInitialStridesCD, emitAddressSetupCode */
s_mul_i32 s56, s[sgprStrideC1J], 5                 // scale stride
_v_add_u32 v2, v2, s56                             // ROWINC- Move cinRowPtr to next row
s_mul_i32 s56, s[sgprStrideD1J], 5                 // scale stride
_v_add_u32 v3, v3, s56                             // Move coutRowPtr to next row
v_cmp_lt_u32 s[56:57], v0, s[sgprSizeI]            // coord0 < size0
v_cmp_lt_u32 s[60:61], v1, s[sgprSizeJ]            // coord1 < size1
s_and_b64 s[60:61], s[56:57], s[60:61]             // in0 && in1
_v_add_lshl_u32 v6, v3, v0, 0x2                    // scaleToBpe: accumulate d0 lower and *= bpe into Cin addr
v_cndmask_b32 v6, -1, v6, s[60:61]                 // LDD clip if OOB. offset
/* (d1,vc1,d0,vc0)=(3,1,0,0) */
_v_add_co_u32 v1, vcc, v1, 1                       // coord1.1: coord1Vgpr += d1*sg1*VW + vc1

/* Fix for UseInitialStridesCD, emitAddressSetupCode */
_v_add_u32 v2, v2, s[sgprStrideC1J]                // ROWINC- Move cinRowPtr to next row
_v_add_u32 v3, v3, s[sgprStrideD1J]                // Move coutRowPtr to next row
v_cmp_lt_u32 s[56:57], v0, s[sgprSizeI]            // coord0 < size0
v_cmp_lt_u32 s[60:61], v1, s[sgprSizeJ]            // coord1 < size1
s_and_b64 s[60:61], s[56:57], s[60:61]             // in0 && in1
_v_add_lshl_u32 v8, v3, v0, 0x2                    // scaleToBpe: accumulate d0 lower and *= bpe into Cin addr
v_cndmask_b32 v8, -1, v8, s[60:61]                 // LDD clip if OOB. offset
v_accvgpr_read_b32 v[vgprValuC+7], acc12 // copy acc to vreg[12]
v_accvgpr_read_b32 v[vgprValuC+9], acc13 // copy acc to vreg[13]
s_nop 1                                            // 2 wait states required before reading vgpr

/* rC *= alpha batchElements=[(3, 0, 0, 0), (3, 0, 1, 0)] */

/* apply mask, calc new C and issue writes */
_buffer_store_b32 v7, v6, s[sgprSrdD:sgprSrdD+3], 0, offen, offset:0 // store D
_buffer_store_b32 v9, v8, s[sgprSrdD:sgprSrdD+3], 0, offen, offset:0 // store D
s_nop 0                                            // 1 wait state required when next inst writes vgprs held by previous dwordx4 store inst
/* optSingleColVgpr=0 optSharedColVgpr=0 optSGPRUsage=BufferLoad_Edge_Mask optSrdIncForRow=0 */

/******************************************/
/* Global Write Alpha Edge Batch #7 (d1,d0,vc1,vc0) = */
/*    (3,0,2,0:vw1); (3,0,3,0:vw1)        */
/******************************************/

/* calc coords, apply mask, and issue loads (if necessary) */
/* (d1,vc1,d0,vc0)=(3,2,0,0) */
_v_add_co_u32 v1, vcc, v1, 1                       // coord1.1: coord1Vgpr += d1*sg1*VW + vc1

/* Fix for UseInitialStridesCD, emitAddressSetupCode */
_v_add_u32 v2, v2, s[sgprStrideC1J]                // ROWINC- Move cinRowPtr to next row
_v_add_u32 v3, v3, s[sgprStrideD1J]                // Move coutRowPtr to next row
v_cmp_lt_u32 s[56:57], v0, s[sgprSizeI]            // coord0 < size0
v_cmp_lt_u32 s[60:61], v1, s[sgprSizeJ]            // coord1 < size1
s_and_b64 s[60:61], s[56:57], s[60:61]             // in0 && in1
_v_add_lshl_u32 v6, v3, v0, 0x2                    // scaleToBpe: accumulate d0 lower and *= bpe into Cin addr
v_cndmask_b32 v6, -1, v6, s[60:61]                 // LDD clip if OOB. offset
/* (d1,vc1,d0,vc0)=(3,3,0,0) */
_v_add_co_u32 v1, vcc, v1, 1                       // coord1.1: coord1Vgpr += d1*sg1*VW + vc1

/* Fix for UseInitialStridesCD, emitAddressSetupCode */
_v_add_u32 v2, v2, s[sgprStrideC1J]                // ROWINC- Move cinRowPtr to next row
_v_add_u32 v3, v3, s[sgprStrideD1J]                // Move coutRowPtr to next row
v_cmp_lt_u32 s[56:57], v0, s[sgprSizeI]            // coord0 < size0
v_cmp_lt_u32 s[60:61], v1, s[sgprSizeJ]            // coord1 < size1
s_and_b64 s[60:61], s[56:57], s[60:61]             // in0 && in1
_v_add_lshl_u32 v8, v3, v0, 0x2                    // scaleToBpe: accumulate d0 lower and *= bpe into Cin addr
v_cndmask_b32 v8, -1, v8, s[60:61]                 // LDD clip if OOB. offset
v_accvgpr_read_b32 v[vgprValuC+7], acc14 // copy acc to vreg[14]
v_accvgpr_read_b32 v[vgprValuC+9], acc15 // copy acc to vreg[15]
s_nop 1                                            // 2 wait states required before reading vgpr

/* rC *= alpha batchElements=[(3, 0, 2, 0), (3, 0, 3, 0)] */

/* apply mask, calc new C and issue writes */
_buffer_store_b32 v7, v6, s[sgprSrdD:sgprSrdD+3], 0, offen, offset:0 // store D
_buffer_store_b32 v9, v8, s[sgprSrdD:sgprSrdD+3], 0, offen, offset:0 // store D
s_nop 0                                            // 1 wait state required when next inst writes vgprs held by previous dwordx4 store inst
s_branch label_GW_End_110                          // jump to end
label_GW_End_110:

label_0115:  /// KernelEnd
s_endpgm                                           // Kernel End

